;; amdgpu-corpus repo=ROCm/rocSOLVER kind=compiled arch=gfx950 opt=O3
	.amdgcn_target "amdgcn-amd-amdhsa--gfx950"
	.amdhsa_code_object_version 6
	.section	.text._ZN9rocsolver6v33100L18larfg_kernel_smallILi64EdidPdEEvT1_T3_llPT2_llS4_lS3_lPT0_l,"axG",@progbits,_ZN9rocsolver6v33100L18larfg_kernel_smallILi64EdidPdEEvT1_T3_llPT2_llS4_lS3_lPT0_l,comdat
	.globl	_ZN9rocsolver6v33100L18larfg_kernel_smallILi64EdidPdEEvT1_T3_llPT2_llS4_lS3_lPT0_l ; -- Begin function _ZN9rocsolver6v33100L18larfg_kernel_smallILi64EdidPdEEvT1_T3_llPT2_llS4_lS3_lPT0_l
	.p2align	8
	.type	_ZN9rocsolver6v33100L18larfg_kernel_smallILi64EdidPdEEvT1_T3_llPT2_llS4_lS3_lPT0_l,@function
_ZN9rocsolver6v33100L18larfg_kernel_smallILi64EdidPdEEvT1_T3_llPT2_llS4_lS3_lPT0_l: ; @_ZN9rocsolver6v33100L18larfg_kernel_smallILi64EdidPdEEvT1_T3_llPT2_llS4_lS3_lPT0_l
; %bb.0:
	s_load_dwordx16 s[4:19], s[0:1], 0x8
	s_ashr_i32 s2, s3, 31
	s_mov_b64 s[20:21], 0
	s_waitcnt lgkmcnt(0)
	s_cmp_eq_u64 s[10:11], 0
	s_cbranch_scc1 .LBB0_2
; %bb.1:
	s_mul_i32 s20, s14, s2
	s_mul_hi_u32 s21, s14, s3
	s_add_i32 s20, s21, s20
	s_mul_i32 s15, s15, s3
	s_add_i32 s15, s20, s15
	s_mul_i32 s14, s14, s3
	s_lshl_b64 s[14:15], s[14:15], 3
	s_add_u32 s14, s10, s14
	s_addc_u32 s15, s11, s15
	s_lshl_b64 s[10:11], s[12:13], 3
	s_add_u32 s20, s14, s10
	s_addc_u32 s21, s15, s11
.LBB0_2:
	s_load_dwordx4 s[12:15], s[0:1], 0x50
	s_load_dword s24, s[0:1], 0x0
	s_load_dword s25, s[0:1], 0x48
	s_load_dwordx2 s[22:23], s[0:1], 0x60
	v_mov_b64_e32 v[4:5], 0
	s_waitcnt lgkmcnt(0)
	s_mul_i32 s0, s12, s2
	s_mul_hi_u32 s1, s12, s3
	s_add_i32 s0, s1, s0
	s_mul_i32 s1, s13, s3
	s_add_i32 s1, s0, s1
	s_mul_i32 s0, s12, s3
	s_lshl_b64 s[0:1], s[0:1], 3
	s_add_u32 s10, s16, s0
	s_addc_u32 s11, s17, s1
	s_lshl_b64 s[0:1], s[18:19], 3
	s_add_u32 s10, s10, s0
	s_addc_u32 s11, s11, s1
	s_add_i32 s24, s24, -1
	v_cmp_gt_i32_e64 s[0:1], s24, v0
	v_mul_lo_u32 v2, v0, s25
	s_and_saveexec_b64 s[12:13], s[0:1]
	s_cbranch_execz .LBB0_6
; %bb.3:
	v_mul_lo_u32 v6, v0, s25
	s_lshl_b32 s18, s25, 6
	v_mov_b64_e32 v[4:5], 0
	s_mov_b64 s[16:17], 0
	v_mov_b32_e32 v1, v0
.LBB0_4:                                ; =>This Inner Loop Header: Depth=1
	v_ashrrev_i32_e32 v7, 31, v6
	v_lshl_add_u64 v[8:9], v[6:7], 3, s[10:11]
	global_load_dwordx2 v[8:9], v[8:9], off
	v_add_u32_e32 v1, 64, v1
	v_cmp_le_i32_e32 vcc, s24, v1
	s_or_b64 s[16:17], vcc, s[16:17]
	v_add_u32_e32 v6, s18, v6
	s_waitcnt vmcnt(0)
	v_fmac_f64_e32 v[4:5], v[8:9], v[8:9]
	s_andn2_b64 exec, exec, s[16:17]
	s_cbranch_execnz .LBB0_4
; %bb.5:
	s_or_b64 exec, exec, s[16:17]
.LBB0_6:
	s_or_b64 exec, exec, s[12:13]
	v_mbcnt_lo_u32_b32 v1, -1, 0
	v_mbcnt_hi_u32_b32 v1, -1, v1
	v_and_b32_e32 v3, 63, v1
	v_cmp_ne_u32_e32 vcc, 63, v3
	s_nop 1
	v_addc_co_u32_e32 v6, vcc, 0, v1, vcc
	v_lshlrev_b32_e32 v7, 2, v6
	ds_bpermute_b32 v6, v7, v4
	ds_bpermute_b32 v7, v7, v5
	v_cmp_gt_u32_e32 vcc, 62, v3
	s_waitcnt lgkmcnt(0)
	v_add_f64 v[4:5], v[4:5], v[6:7]
	v_cndmask_b32_e64 v6, 0, 2, vcc
	v_add_lshl_u32 v7, v6, v1, 2
	ds_bpermute_b32 v6, v7, v4
	ds_bpermute_b32 v7, v7, v5
	v_cmp_gt_u32_e32 vcc, 60, v3
	s_waitcnt lgkmcnt(0)
	v_add_f64 v[4:5], v[4:5], v[6:7]
	v_cndmask_b32_e64 v6, 0, 4, vcc
	v_add_lshl_u32 v7, v6, v1, 2
	;; [unrolled: 7-line block ×4, first 2 shown]
	ds_bpermute_b32 v6, v3, v4
	ds_bpermute_b32 v7, v3, v5
	v_mov_b32_e32 v3, 0x80
	v_lshl_or_b32 v1, v1, 2, v3
	v_cmp_eq_u32_e32 vcc, 0, v0
	s_waitcnt lgkmcnt(0)
	v_add_f64 v[4:5], v[4:5], v[6:7]
	ds_bpermute_b32 v6, v1, v4
	ds_bpermute_b32 v7, v1, v5
	s_waitcnt lgkmcnt(0)
	v_add_f64 v[4:5], v[4:5], v[6:7]
	s_and_saveexec_b64 s[12:13], vcc
; %bb.7:
	v_lshrrev_b32_e32 v1, 3, v0
	ds_write_b64 v1, v[4:5]
; %bb.8:
	s_or_b64 exec, exec, s[12:13]
	v_cmp_eq_u32_e32 vcc, 0, v0
	s_waitcnt lgkmcnt(0)
	; wave barrier
	s_and_saveexec_b64 s[12:13], vcc
; %bb.9:
	v_mov_b32_e32 v1, 0
	ds_write_b64 v1, v[4:5]
; %bb.10:
	s_or_b64 exec, exec, s[12:13]
	s_waitcnt lgkmcnt(0)
	; wave barrier
	s_and_saveexec_b64 s[12:13], vcc
	s_cbranch_execz .LBB0_20
; %bb.11:
	s_mul_i32 s16, s8, s2
	s_mul_hi_u32 s17, s8, s3
	s_add_i32 s16, s17, s16
	s_mul_i32 s9, s9, s3
	s_add_i32 s9, s16, s9
	s_mul_i32 s8, s8, s3
	s_lshl_b64 s[8:9], s[8:9], 3
	s_add_u32 s8, s4, s8
	s_addc_u32 s9, s5, s9
	s_lshl_b64 s[4:5], s[6:7], 3
	s_add_u32 s4, s8, s4
	s_mul_i32 s2, s22, s2
	s_mul_hi_u32 s6, s22, s3
	s_addc_u32 s5, s9, s5
	s_add_i32 s2, s6, s2
	s_mul_i32 s6, s23, s3
	v_mov_b32_e32 v4, 0
	s_add_i32 s7, s2, s6
	s_mul_i32 s6, s22, s3
	ds_read_b64 v[6:7], v4
	s_lshl_b64 s[2:3], s[6:7], 3
	s_add_u32 s6, s14, s2
	s_addc_u32 s7, s15, s3
	s_cmp_eq_u64 s[20:21], 0
	s_cselect_b64 s[2:3], -1, 0
	s_cmp_lg_u64 s[20:21], 0
	s_waitcnt lgkmcnt(0)
	v_cmp_nlt_f64_e32 vcc, 0, v[6:7]
	s_mov_b64 s[14:15], 0
	s_cselect_b64 s[8:9], -1, 0
	s_cbranch_vccz .LBB0_14
; %bb.12:
	v_mov_b32_e32 v5, 0x3ff00000
	ds_write_b64 v4, v[4:5]
	v_mov_b32_e32 v5, v4
	s_mov_b64 s[18:19], 0
	s_and_b64 vcc, exec, s[8:9]
	global_store_dwordx2 v4, v[4:5], s[6:7]
	s_cbranch_vccz .LBB0_15
; %bb.13:
	v_mov_b32_e32 v1, 0
	global_load_dwordx2 v[4:5], v1, s[4:5]
	s_mov_b64 s[16:17], -1
	s_and_b64 vcc, exec, s[18:19]
	s_cbranch_vccnz .LBB0_16
	s_branch .LBB0_17
.LBB0_14:
	s_mov_b64 s[18:19], -1
.LBB0_15:
	s_mov_b64 s[16:17], 0
                                        ; implicit-def: $vgpr4_vgpr5
	s_and_b64 vcc, exec, s[18:19]
	s_cbranch_vccz .LBB0_17
.LBB0_16:
	v_mov_b32_e32 v1, 0
	global_load_dwordx2 v[8:9], v1, s[4:5]
	s_mov_b32 s14, 0
	s_brev_b32 s15, 8
	v_mov_b32_e32 v3, 0x260
	s_mov_b64 s[16:17], s[8:9]
	s_waitcnt vmcnt(0)
	v_fmac_f64_e32 v[6:7], v[8:9], v[8:9]
	v_cmp_gt_f64_e32 vcc, s[14:15], v[6:7]
	s_and_b64 s[14:15], vcc, exec
	s_cselect_b32 s14, 0x100, 0
	v_ldexp_f64 v[4:5], v[6:7], s14
	v_rsq_f64_e32 v[6:7], v[4:5]
	s_mov_b64 s[14:15], s[2:3]
	s_cselect_b32 s2, 0xffffff80, 0
	v_cmp_class_f64_e32 vcc, v[4:5], v3
	v_mul_f64 v[10:11], v[4:5], v[6:7]
	v_mul_f64 v[6:7], v[6:7], 0.5
	v_fma_f64 v[12:13], -v[6:7], v[10:11], 0.5
	v_fmac_f64_e32 v[10:11], v[10:11], v[12:13]
	v_fmac_f64_e32 v[6:7], v[6:7], v[12:13]
	v_fma_f64 v[12:13], -v[10:11], v[10:11], v[4:5]
	v_fmac_f64_e32 v[10:11], v[12:13], v[6:7]
	v_fma_f64 v[12:13], -v[10:11], v[10:11], v[4:5]
	v_fmac_f64_e32 v[10:11], v[12:13], v[6:7]
	v_ldexp_f64 v[6:7], v[10:11], s2
	v_cndmask_b32_e32 v3, v7, v5, vcc
	v_cndmask_b32_e32 v4, v6, v4, vcc
	v_xor_b32_e32 v5, 0x80000000, v3
	v_cmp_le_f64_e32 vcc, 0, v[8:9]
	s_nop 1
	v_cndmask_b32_e32 v5, v3, v5, vcc
	v_add_f64 v[6:7], v[8:9], -v[4:5]
	v_add_f64 v[8:9], v[4:5], -v[8:9]
	v_div_scale_f64 v[10:11], s[2:3], v[6:7], v[6:7], 1.0
	v_div_scale_f64 v[14:15], s[2:3], v[4:5], v[4:5], v[8:9]
	v_rcp_f64_e32 v[16:17], v[10:11]
	v_rcp_f64_e32 v[18:19], v[14:15]
	v_div_scale_f64 v[12:13], vcc, 1.0, v[6:7], 1.0
	v_fma_f64 v[22:23], -v[10:11], v[16:17], 1.0
	v_fma_f64 v[24:25], -v[14:15], v[18:19], 1.0
	v_fmac_f64_e32 v[16:17], v[16:17], v[22:23]
	v_fmac_f64_e32 v[18:19], v[18:19], v[24:25]
	v_fma_f64 v[22:23], -v[10:11], v[16:17], 1.0
	v_fma_f64 v[24:25], -v[14:15], v[18:19], 1.0
	v_fmac_f64_e32 v[16:17], v[16:17], v[22:23]
	v_div_scale_f64 v[20:21], s[2:3], v[8:9], v[4:5], v[8:9]
	v_fmac_f64_e32 v[18:19], v[18:19], v[24:25]
	v_mul_f64 v[22:23], v[12:13], v[16:17]
	v_mul_f64 v[24:25], v[20:21], v[18:19]
	v_fma_f64 v[10:11], -v[10:11], v[22:23], v[12:13]
	v_fma_f64 v[12:13], -v[14:15], v[24:25], v[20:21]
	v_div_fmas_f64 v[10:11], v[10:11], v[16:17], v[22:23]
	s_mov_b64 vcc, s[2:3]
	v_div_fixup_f64 v[6:7], v[10:11], v[6:7], 1.0
	v_div_fmas_f64 v[10:11], v[12:13], v[18:19], v[24:25]
	ds_write_b64 v1, v[6:7]
	v_div_fixup_f64 v[6:7], v[10:11], v[4:5], v[8:9]
	global_store_dwordx2 v1, v[6:7], s[6:7]
.LBB0_17:
	s_andn2_b64 vcc, exec, s[16:17]
	s_cbranch_vccz .LBB0_24
; %bb.18:
	s_andn2_b64 vcc, exec, s[14:15]
	s_cbranch_vccnz .LBB0_20
.LBB0_19:
	v_mov_b32_e32 v1, 0
	s_waitcnt vmcnt(0)
	global_store_dwordx2 v1, v[4:5], s[4:5]
.LBB0_20:
	s_or_b64 exec, exec, s[12:13]
	s_waitcnt lgkmcnt(0)
	; wave barrier
	s_and_saveexec_b64 s[2:3], s[0:1]
	s_cbranch_execz .LBB0_23
; %bb.21:
	v_mov_b32_e32 v1, 0
	s_waitcnt vmcnt(0)
	ds_read_b64 v[4:5], v1
	s_lshl_b32 s2, s25, 6
	s_mov_b64 s[0:1], 0
.LBB0_22:                               ; =>This Inner Loop Header: Depth=1
	v_ashrrev_i32_e32 v3, 31, v2
	v_lshl_add_u64 v[6:7], v[2:3], 3, s[10:11]
	global_load_dwordx2 v[8:9], v[6:7], off
	v_add_u32_e32 v0, 64, v0
	v_cmp_le_i32_e32 vcc, s24, v0
	s_or_b64 s[0:1], vcc, s[0:1]
	v_add_u32_e32 v2, s2, v2
	s_waitcnt vmcnt(0) lgkmcnt(0)
	v_mul_f64 v[8:9], v[4:5], v[8:9]
	global_store_dwordx2 v[6:7], v[8:9], off
	s_andn2_b64 exec, exec, s[0:1]
	s_cbranch_execnz .LBB0_22
.LBB0_23:
	s_endpgm
.LBB0_24:
	v_mov_b32_e32 v1, 0
	s_waitcnt vmcnt(0)
	global_store_dwordx2 v1, v[4:5], s[20:21]
	v_mov_b64_e32 v[4:5], 1.0
	s_branch .LBB0_19
	.section	.rodata,"a",@progbits
	.p2align	6, 0x0
	.amdhsa_kernel _ZN9rocsolver6v33100L18larfg_kernel_smallILi64EdidPdEEvT1_T3_llPT2_llS4_lS3_lPT0_l
		.amdhsa_group_segment_fixed_size 8
		.amdhsa_private_segment_fixed_size 0
		.amdhsa_kernarg_size 104
		.amdhsa_user_sgpr_count 2
		.amdhsa_user_sgpr_dispatch_ptr 0
		.amdhsa_user_sgpr_queue_ptr 0
		.amdhsa_user_sgpr_kernarg_segment_ptr 1
		.amdhsa_user_sgpr_dispatch_id 0
		.amdhsa_user_sgpr_kernarg_preload_length 0
		.amdhsa_user_sgpr_kernarg_preload_offset 0
		.amdhsa_user_sgpr_private_segment_size 0
		.amdhsa_uses_dynamic_stack 0
		.amdhsa_enable_private_segment 0
		.amdhsa_system_sgpr_workgroup_id_x 1
		.amdhsa_system_sgpr_workgroup_id_y 0
		.amdhsa_system_sgpr_workgroup_id_z 1
		.amdhsa_system_sgpr_workgroup_info 0
		.amdhsa_system_vgpr_workitem_id 0
		.amdhsa_next_free_vgpr 26
		.amdhsa_next_free_sgpr 26
		.amdhsa_accum_offset 28
		.amdhsa_reserve_vcc 1
		.amdhsa_float_round_mode_32 0
		.amdhsa_float_round_mode_16_64 0
		.amdhsa_float_denorm_mode_32 3
		.amdhsa_float_denorm_mode_16_64 3
		.amdhsa_dx10_clamp 1
		.amdhsa_ieee_mode 1
		.amdhsa_fp16_overflow 0
		.amdhsa_tg_split 0
		.amdhsa_exception_fp_ieee_invalid_op 0
		.amdhsa_exception_fp_denorm_src 0
		.amdhsa_exception_fp_ieee_div_zero 0
		.amdhsa_exception_fp_ieee_overflow 0
		.amdhsa_exception_fp_ieee_underflow 0
		.amdhsa_exception_fp_ieee_inexact 0
		.amdhsa_exception_int_div_zero 0
	.end_amdhsa_kernel
	.section	.text._ZN9rocsolver6v33100L18larfg_kernel_smallILi64EdidPdEEvT1_T3_llPT2_llS4_lS3_lPT0_l,"axG",@progbits,_ZN9rocsolver6v33100L18larfg_kernel_smallILi64EdidPdEEvT1_T3_llPT2_llS4_lS3_lPT0_l,comdat
.Lfunc_end0:
	.size	_ZN9rocsolver6v33100L18larfg_kernel_smallILi64EdidPdEEvT1_T3_llPT2_llS4_lS3_lPT0_l, .Lfunc_end0-_ZN9rocsolver6v33100L18larfg_kernel_smallILi64EdidPdEEvT1_T3_llPT2_llS4_lS3_lPT0_l
                                        ; -- End function
	.set _ZN9rocsolver6v33100L18larfg_kernel_smallILi64EdidPdEEvT1_T3_llPT2_llS4_lS3_lPT0_l.num_vgpr, 26
	.set _ZN9rocsolver6v33100L18larfg_kernel_smallILi64EdidPdEEvT1_T3_llPT2_llS4_lS3_lPT0_l.num_agpr, 0
	.set _ZN9rocsolver6v33100L18larfg_kernel_smallILi64EdidPdEEvT1_T3_llPT2_llS4_lS3_lPT0_l.numbered_sgpr, 26
	.set _ZN9rocsolver6v33100L18larfg_kernel_smallILi64EdidPdEEvT1_T3_llPT2_llS4_lS3_lPT0_l.num_named_barrier, 0
	.set _ZN9rocsolver6v33100L18larfg_kernel_smallILi64EdidPdEEvT1_T3_llPT2_llS4_lS3_lPT0_l.private_seg_size, 0
	.set _ZN9rocsolver6v33100L18larfg_kernel_smallILi64EdidPdEEvT1_T3_llPT2_llS4_lS3_lPT0_l.uses_vcc, 1
	.set _ZN9rocsolver6v33100L18larfg_kernel_smallILi64EdidPdEEvT1_T3_llPT2_llS4_lS3_lPT0_l.uses_flat_scratch, 0
	.set _ZN9rocsolver6v33100L18larfg_kernel_smallILi64EdidPdEEvT1_T3_llPT2_llS4_lS3_lPT0_l.has_dyn_sized_stack, 0
	.set _ZN9rocsolver6v33100L18larfg_kernel_smallILi64EdidPdEEvT1_T3_llPT2_llS4_lS3_lPT0_l.has_recursion, 0
	.set _ZN9rocsolver6v33100L18larfg_kernel_smallILi64EdidPdEEvT1_T3_llPT2_llS4_lS3_lPT0_l.has_indirect_call, 0
	.section	.AMDGPU.csdata,"",@progbits
; Kernel info:
; codeLenInByte = 1380
; TotalNumSgprs: 32
; NumVgprs: 26
; NumAgprs: 0
; TotalNumVgprs: 26
; ScratchSize: 0
; MemoryBound: 0
; FloatMode: 240
; IeeeMode: 1
; LDSByteSize: 8 bytes/workgroup (compile time only)
; SGPRBlocks: 3
; VGPRBlocks: 3
; NumSGPRsForWavesPerEU: 32
; NumVGPRsForWavesPerEU: 26
; AccumOffset: 28
; Occupancy: 8
; WaveLimiterHint : 1
; COMPUTE_PGM_RSRC2:SCRATCH_EN: 0
; COMPUTE_PGM_RSRC2:USER_SGPR: 2
; COMPUTE_PGM_RSRC2:TRAP_HANDLER: 0
; COMPUTE_PGM_RSRC2:TGID_X_EN: 1
; COMPUTE_PGM_RSRC2:TGID_Y_EN: 0
; COMPUTE_PGM_RSRC2:TGID_Z_EN: 1
; COMPUTE_PGM_RSRC2:TIDIG_COMP_CNT: 0
; COMPUTE_PGM_RSRC3_GFX90A:ACCUM_OFFSET: 6
; COMPUTE_PGM_RSRC3_GFX90A:TG_SPLIT: 0
	.section	.text._ZN9rocsolver6v33100L18larfg_kernel_smallILi128EdidPdEEvT1_T3_llPT2_llS4_lS3_lPT0_l,"axG",@progbits,_ZN9rocsolver6v33100L18larfg_kernel_smallILi128EdidPdEEvT1_T3_llPT2_llS4_lS3_lPT0_l,comdat
	.globl	_ZN9rocsolver6v33100L18larfg_kernel_smallILi128EdidPdEEvT1_T3_llPT2_llS4_lS3_lPT0_l ; -- Begin function _ZN9rocsolver6v33100L18larfg_kernel_smallILi128EdidPdEEvT1_T3_llPT2_llS4_lS3_lPT0_l
	.p2align	8
	.type	_ZN9rocsolver6v33100L18larfg_kernel_smallILi128EdidPdEEvT1_T3_llPT2_llS4_lS3_lPT0_l,@function
_ZN9rocsolver6v33100L18larfg_kernel_smallILi128EdidPdEEvT1_T3_llPT2_llS4_lS3_lPT0_l: ; @_ZN9rocsolver6v33100L18larfg_kernel_smallILi128EdidPdEEvT1_T3_llPT2_llS4_lS3_lPT0_l
; %bb.0:
	s_load_dwordx16 s[4:19], s[0:1], 0x8
	s_ashr_i32 s2, s3, 31
	s_mov_b64 s[20:21], 0
	s_waitcnt lgkmcnt(0)
	s_cmp_eq_u64 s[10:11], 0
	s_cbranch_scc1 .LBB1_2
; %bb.1:
	s_mul_i32 s20, s14, s2
	s_mul_hi_u32 s21, s14, s3
	s_add_i32 s20, s21, s20
	s_mul_i32 s15, s15, s3
	s_add_i32 s15, s20, s15
	s_mul_i32 s14, s14, s3
	s_lshl_b64 s[14:15], s[14:15], 3
	s_add_u32 s14, s10, s14
	s_addc_u32 s15, s11, s15
	s_lshl_b64 s[10:11], s[12:13], 3
	s_add_u32 s20, s14, s10
	s_addc_u32 s21, s15, s11
.LBB1_2:
	s_load_dwordx4 s[12:15], s[0:1], 0x50
	s_load_dword s24, s[0:1], 0x0
	s_load_dword s25, s[0:1], 0x48
	s_load_dwordx2 s[22:23], s[0:1], 0x60
	v_mov_b64_e32 v[4:5], 0
	s_waitcnt lgkmcnt(0)
	s_mul_i32 s0, s12, s2
	s_mul_hi_u32 s1, s12, s3
	s_add_i32 s0, s1, s0
	s_mul_i32 s1, s13, s3
	s_add_i32 s1, s0, s1
	s_mul_i32 s0, s12, s3
	s_lshl_b64 s[0:1], s[0:1], 3
	s_add_u32 s10, s16, s0
	s_addc_u32 s11, s17, s1
	s_lshl_b64 s[0:1], s[18:19], 3
	s_add_u32 s10, s10, s0
	s_addc_u32 s11, s11, s1
	s_add_i32 s24, s24, -1
	v_cmp_gt_i32_e64 s[0:1], s24, v0
	v_mul_lo_u32 v2, v0, s25
	s_and_saveexec_b64 s[12:13], s[0:1]
	s_cbranch_execz .LBB1_6
; %bb.3:
	v_mul_lo_u32 v6, v0, s25
	s_lshl_b32 s18, s25, 7
	v_mov_b64_e32 v[4:5], 0
	s_mov_b64 s[16:17], 0
	v_mov_b32_e32 v1, v0
.LBB1_4:                                ; =>This Inner Loop Header: Depth=1
	v_ashrrev_i32_e32 v7, 31, v6
	v_lshl_add_u64 v[8:9], v[6:7], 3, s[10:11]
	global_load_dwordx2 v[8:9], v[8:9], off
	v_add_u32_e32 v1, 0x80, v1
	v_cmp_le_i32_e32 vcc, s24, v1
	s_or_b64 s[16:17], vcc, s[16:17]
	v_add_u32_e32 v6, s18, v6
	s_waitcnt vmcnt(0)
	v_fmac_f64_e32 v[4:5], v[8:9], v[8:9]
	s_andn2_b64 exec, exec, s[16:17]
	s_cbranch_execnz .LBB1_4
; %bb.5:
	s_or_b64 exec, exec, s[16:17]
.LBB1_6:
	s_or_b64 exec, exec, s[12:13]
	v_mbcnt_lo_u32_b32 v1, -1, 0
	v_mbcnt_hi_u32_b32 v1, -1, v1
	v_and_b32_e32 v3, 63, v1
	v_cmp_ne_u32_e32 vcc, 63, v3
	s_nop 1
	v_addc_co_u32_e32 v6, vcc, 0, v1, vcc
	v_lshlrev_b32_e32 v7, 2, v6
	ds_bpermute_b32 v6, v7, v4
	ds_bpermute_b32 v7, v7, v5
	v_cmp_gt_u32_e32 vcc, 62, v3
	s_waitcnt lgkmcnt(0)
	v_add_f64 v[4:5], v[4:5], v[6:7]
	v_cndmask_b32_e64 v6, 0, 2, vcc
	v_add_lshl_u32 v7, v6, v1, 2
	ds_bpermute_b32 v6, v7, v4
	ds_bpermute_b32 v7, v7, v5
	v_cmp_gt_u32_e32 vcc, 60, v3
	s_waitcnt lgkmcnt(0)
	v_add_f64 v[4:5], v[4:5], v[6:7]
	v_cndmask_b32_e64 v6, 0, 4, vcc
	v_add_lshl_u32 v7, v6, v1, 2
	;; [unrolled: 7-line block ×4, first 2 shown]
	ds_bpermute_b32 v6, v3, v4
	ds_bpermute_b32 v7, v3, v5
	v_mov_b32_e32 v3, 0x80
	v_lshl_or_b32 v1, v1, 2, v3
	s_waitcnt lgkmcnt(0)
	v_add_f64 v[4:5], v[4:5], v[6:7]
	ds_bpermute_b32 v6, v1, v4
	ds_bpermute_b32 v7, v1, v5
	v_and_b32_e32 v1, 63, v0
	v_cmp_eq_u32_e32 vcc, 0, v1
	s_waitcnt lgkmcnt(0)
	v_add_f64 v[4:5], v[4:5], v[6:7]
	s_and_saveexec_b64 s[12:13], vcc
; %bb.7:
	v_lshrrev_b32_e32 v1, 3, v0
	ds_write_b64 v1, v[4:5]
; %bb.8:
	s_or_b64 exec, exec, s[12:13]
	v_cmp_eq_u32_e32 vcc, 0, v0
	s_waitcnt lgkmcnt(0)
	s_barrier
	s_and_saveexec_b64 s[12:13], vcc
	s_cbranch_execz .LBB1_10
; %bb.9:
	v_mov_b32_e32 v1, 0
	ds_read_b64 v[6:7], v1 offset:8
	s_waitcnt lgkmcnt(0)
	v_add_f64 v[4:5], v[4:5], v[6:7]
	ds_write_b64 v1, v[4:5]
.LBB1_10:
	s_or_b64 exec, exec, s[12:13]
	s_waitcnt lgkmcnt(0)
	s_barrier
	s_and_saveexec_b64 s[12:13], vcc
	s_cbranch_execz .LBB1_20
; %bb.11:
	s_mul_i32 s16, s8, s2
	s_mul_hi_u32 s17, s8, s3
	s_add_i32 s16, s17, s16
	s_mul_i32 s9, s9, s3
	s_add_i32 s9, s16, s9
	s_mul_i32 s8, s8, s3
	s_lshl_b64 s[8:9], s[8:9], 3
	s_add_u32 s8, s4, s8
	s_addc_u32 s9, s5, s9
	s_lshl_b64 s[4:5], s[6:7], 3
	s_add_u32 s4, s8, s4
	s_mul_i32 s2, s22, s2
	s_mul_hi_u32 s6, s22, s3
	s_addc_u32 s5, s9, s5
	s_add_i32 s2, s6, s2
	s_mul_i32 s6, s23, s3
	v_mov_b32_e32 v4, 0
	s_add_i32 s7, s2, s6
	s_mul_i32 s6, s22, s3
	ds_read_b64 v[6:7], v4
	s_lshl_b64 s[2:3], s[6:7], 3
	s_add_u32 s6, s14, s2
	s_addc_u32 s7, s15, s3
	s_cmp_eq_u64 s[20:21], 0
	s_cselect_b64 s[2:3], -1, 0
	s_cmp_lg_u64 s[20:21], 0
	s_waitcnt lgkmcnt(0)
	v_cmp_nlt_f64_e32 vcc, 0, v[6:7]
	s_mov_b64 s[14:15], 0
	s_cselect_b64 s[8:9], -1, 0
	s_cbranch_vccz .LBB1_14
; %bb.12:
	v_mov_b32_e32 v5, 0x3ff00000
	ds_write_b64 v4, v[4:5]
	v_mov_b32_e32 v5, v4
	s_mov_b64 s[18:19], 0
	s_and_b64 vcc, exec, s[8:9]
	global_store_dwordx2 v4, v[4:5], s[6:7]
	s_cbranch_vccz .LBB1_15
; %bb.13:
	v_mov_b32_e32 v1, 0
	global_load_dwordx2 v[4:5], v1, s[4:5]
	s_mov_b64 s[16:17], -1
	s_and_b64 vcc, exec, s[18:19]
	s_cbranch_vccnz .LBB1_16
	s_branch .LBB1_17
.LBB1_14:
	s_mov_b64 s[18:19], -1
.LBB1_15:
	s_mov_b64 s[16:17], 0
                                        ; implicit-def: $vgpr4_vgpr5
	s_and_b64 vcc, exec, s[18:19]
	s_cbranch_vccz .LBB1_17
.LBB1_16:
	v_mov_b32_e32 v1, 0
	global_load_dwordx2 v[8:9], v1, s[4:5]
	s_mov_b32 s14, 0
	s_brev_b32 s15, 8
	v_mov_b32_e32 v3, 0x260
	s_mov_b64 s[16:17], s[8:9]
	s_waitcnt vmcnt(0)
	v_fmac_f64_e32 v[6:7], v[8:9], v[8:9]
	v_cmp_gt_f64_e32 vcc, s[14:15], v[6:7]
	s_and_b64 s[14:15], vcc, exec
	s_cselect_b32 s14, 0x100, 0
	v_ldexp_f64 v[4:5], v[6:7], s14
	v_rsq_f64_e32 v[6:7], v[4:5]
	s_mov_b64 s[14:15], s[2:3]
	s_cselect_b32 s2, 0xffffff80, 0
	v_cmp_class_f64_e32 vcc, v[4:5], v3
	v_mul_f64 v[10:11], v[4:5], v[6:7]
	v_mul_f64 v[6:7], v[6:7], 0.5
	v_fma_f64 v[12:13], -v[6:7], v[10:11], 0.5
	v_fmac_f64_e32 v[10:11], v[10:11], v[12:13]
	v_fmac_f64_e32 v[6:7], v[6:7], v[12:13]
	v_fma_f64 v[12:13], -v[10:11], v[10:11], v[4:5]
	v_fmac_f64_e32 v[10:11], v[12:13], v[6:7]
	v_fma_f64 v[12:13], -v[10:11], v[10:11], v[4:5]
	v_fmac_f64_e32 v[10:11], v[12:13], v[6:7]
	v_ldexp_f64 v[6:7], v[10:11], s2
	v_cndmask_b32_e32 v3, v7, v5, vcc
	v_cndmask_b32_e32 v4, v6, v4, vcc
	v_xor_b32_e32 v5, 0x80000000, v3
	v_cmp_le_f64_e32 vcc, 0, v[8:9]
	s_nop 1
	v_cndmask_b32_e32 v5, v3, v5, vcc
	v_add_f64 v[6:7], v[8:9], -v[4:5]
	v_add_f64 v[8:9], v[4:5], -v[8:9]
	v_div_scale_f64 v[10:11], s[2:3], v[6:7], v[6:7], 1.0
	v_div_scale_f64 v[14:15], s[2:3], v[4:5], v[4:5], v[8:9]
	v_rcp_f64_e32 v[16:17], v[10:11]
	v_rcp_f64_e32 v[18:19], v[14:15]
	v_div_scale_f64 v[12:13], vcc, 1.0, v[6:7], 1.0
	v_fma_f64 v[22:23], -v[10:11], v[16:17], 1.0
	v_fma_f64 v[24:25], -v[14:15], v[18:19], 1.0
	v_fmac_f64_e32 v[16:17], v[16:17], v[22:23]
	v_fmac_f64_e32 v[18:19], v[18:19], v[24:25]
	v_fma_f64 v[22:23], -v[10:11], v[16:17], 1.0
	v_fma_f64 v[24:25], -v[14:15], v[18:19], 1.0
	v_fmac_f64_e32 v[16:17], v[16:17], v[22:23]
	v_div_scale_f64 v[20:21], s[2:3], v[8:9], v[4:5], v[8:9]
	v_fmac_f64_e32 v[18:19], v[18:19], v[24:25]
	v_mul_f64 v[22:23], v[12:13], v[16:17]
	v_mul_f64 v[24:25], v[20:21], v[18:19]
	v_fma_f64 v[10:11], -v[10:11], v[22:23], v[12:13]
	v_fma_f64 v[12:13], -v[14:15], v[24:25], v[20:21]
	v_div_fmas_f64 v[10:11], v[10:11], v[16:17], v[22:23]
	s_mov_b64 vcc, s[2:3]
	v_div_fixup_f64 v[6:7], v[10:11], v[6:7], 1.0
	v_div_fmas_f64 v[10:11], v[12:13], v[18:19], v[24:25]
	ds_write_b64 v1, v[6:7]
	v_div_fixup_f64 v[6:7], v[10:11], v[4:5], v[8:9]
	global_store_dwordx2 v1, v[6:7], s[6:7]
.LBB1_17:
	s_andn2_b64 vcc, exec, s[16:17]
	s_cbranch_vccz .LBB1_24
; %bb.18:
	s_andn2_b64 vcc, exec, s[14:15]
	s_cbranch_vccnz .LBB1_20
.LBB1_19:
	v_mov_b32_e32 v1, 0
	s_waitcnt vmcnt(0)
	global_store_dwordx2 v1, v[4:5], s[4:5]
.LBB1_20:
	s_or_b64 exec, exec, s[12:13]
	s_waitcnt lgkmcnt(0)
	s_barrier
	s_and_saveexec_b64 s[2:3], s[0:1]
	s_cbranch_execz .LBB1_23
; %bb.21:
	v_mov_b32_e32 v1, 0
	s_waitcnt vmcnt(0)
	ds_read_b64 v[4:5], v1
	s_lshl_b32 s2, s25, 7
	s_mov_b64 s[0:1], 0
.LBB1_22:                               ; =>This Inner Loop Header: Depth=1
	v_ashrrev_i32_e32 v3, 31, v2
	v_lshl_add_u64 v[6:7], v[2:3], 3, s[10:11]
	global_load_dwordx2 v[8:9], v[6:7], off
	v_add_u32_e32 v0, 0x80, v0
	v_cmp_le_i32_e32 vcc, s24, v0
	s_or_b64 s[0:1], vcc, s[0:1]
	v_add_u32_e32 v2, s2, v2
	s_waitcnt vmcnt(0) lgkmcnt(0)
	v_mul_f64 v[8:9], v[4:5], v[8:9]
	global_store_dwordx2 v[6:7], v[8:9], off
	s_andn2_b64 exec, exec, s[0:1]
	s_cbranch_execnz .LBB1_22
.LBB1_23:
	s_endpgm
.LBB1_24:
	v_mov_b32_e32 v1, 0
	s_waitcnt vmcnt(0)
	global_store_dwordx2 v1, v[4:5], s[20:21]
	v_mov_b64_e32 v[4:5], 1.0
	s_branch .LBB1_19
	.section	.rodata,"a",@progbits
	.p2align	6, 0x0
	.amdhsa_kernel _ZN9rocsolver6v33100L18larfg_kernel_smallILi128EdidPdEEvT1_T3_llPT2_llS4_lS3_lPT0_l
		.amdhsa_group_segment_fixed_size 16
		.amdhsa_private_segment_fixed_size 0
		.amdhsa_kernarg_size 104
		.amdhsa_user_sgpr_count 2
		.amdhsa_user_sgpr_dispatch_ptr 0
		.amdhsa_user_sgpr_queue_ptr 0
		.amdhsa_user_sgpr_kernarg_segment_ptr 1
		.amdhsa_user_sgpr_dispatch_id 0
		.amdhsa_user_sgpr_kernarg_preload_length 0
		.amdhsa_user_sgpr_kernarg_preload_offset 0
		.amdhsa_user_sgpr_private_segment_size 0
		.amdhsa_uses_dynamic_stack 0
		.amdhsa_enable_private_segment 0
		.amdhsa_system_sgpr_workgroup_id_x 1
		.amdhsa_system_sgpr_workgroup_id_y 0
		.amdhsa_system_sgpr_workgroup_id_z 1
		.amdhsa_system_sgpr_workgroup_info 0
		.amdhsa_system_vgpr_workitem_id 0
		.amdhsa_next_free_vgpr 26
		.amdhsa_next_free_sgpr 26
		.amdhsa_accum_offset 28
		.amdhsa_reserve_vcc 1
		.amdhsa_float_round_mode_32 0
		.amdhsa_float_round_mode_16_64 0
		.amdhsa_float_denorm_mode_32 3
		.amdhsa_float_denorm_mode_16_64 3
		.amdhsa_dx10_clamp 1
		.amdhsa_ieee_mode 1
		.amdhsa_fp16_overflow 0
		.amdhsa_tg_split 0
		.amdhsa_exception_fp_ieee_invalid_op 0
		.amdhsa_exception_fp_denorm_src 0
		.amdhsa_exception_fp_ieee_div_zero 0
		.amdhsa_exception_fp_ieee_overflow 0
		.amdhsa_exception_fp_ieee_underflow 0
		.amdhsa_exception_fp_ieee_inexact 0
		.amdhsa_exception_int_div_zero 0
	.end_amdhsa_kernel
	.section	.text._ZN9rocsolver6v33100L18larfg_kernel_smallILi128EdidPdEEvT1_T3_llPT2_llS4_lS3_lPT0_l,"axG",@progbits,_ZN9rocsolver6v33100L18larfg_kernel_smallILi128EdidPdEEvT1_T3_llPT2_llS4_lS3_lPT0_l,comdat
.Lfunc_end1:
	.size	_ZN9rocsolver6v33100L18larfg_kernel_smallILi128EdidPdEEvT1_T3_llPT2_llS4_lS3_lPT0_l, .Lfunc_end1-_ZN9rocsolver6v33100L18larfg_kernel_smallILi128EdidPdEEvT1_T3_llPT2_llS4_lS3_lPT0_l
                                        ; -- End function
	.set _ZN9rocsolver6v33100L18larfg_kernel_smallILi128EdidPdEEvT1_T3_llPT2_llS4_lS3_lPT0_l.num_vgpr, 26
	.set _ZN9rocsolver6v33100L18larfg_kernel_smallILi128EdidPdEEvT1_T3_llPT2_llS4_lS3_lPT0_l.num_agpr, 0
	.set _ZN9rocsolver6v33100L18larfg_kernel_smallILi128EdidPdEEvT1_T3_llPT2_llS4_lS3_lPT0_l.numbered_sgpr, 26
	.set _ZN9rocsolver6v33100L18larfg_kernel_smallILi128EdidPdEEvT1_T3_llPT2_llS4_lS3_lPT0_l.num_named_barrier, 0
	.set _ZN9rocsolver6v33100L18larfg_kernel_smallILi128EdidPdEEvT1_T3_llPT2_llS4_lS3_lPT0_l.private_seg_size, 0
	.set _ZN9rocsolver6v33100L18larfg_kernel_smallILi128EdidPdEEvT1_T3_llPT2_llS4_lS3_lPT0_l.uses_vcc, 1
	.set _ZN9rocsolver6v33100L18larfg_kernel_smallILi128EdidPdEEvT1_T3_llPT2_llS4_lS3_lPT0_l.uses_flat_scratch, 0
	.set _ZN9rocsolver6v33100L18larfg_kernel_smallILi128EdidPdEEvT1_T3_llPT2_llS4_lS3_lPT0_l.has_dyn_sized_stack, 0
	.set _ZN9rocsolver6v33100L18larfg_kernel_smallILi128EdidPdEEvT1_T3_llPT2_llS4_lS3_lPT0_l.has_recursion, 0
	.set _ZN9rocsolver6v33100L18larfg_kernel_smallILi128EdidPdEEvT1_T3_llPT2_llS4_lS3_lPT0_l.has_indirect_call, 0
	.section	.AMDGPU.csdata,"",@progbits
; Kernel info:
; codeLenInByte = 1428
; TotalNumSgprs: 32
; NumVgprs: 26
; NumAgprs: 0
; TotalNumVgprs: 26
; ScratchSize: 0
; MemoryBound: 0
; FloatMode: 240
; IeeeMode: 1
; LDSByteSize: 16 bytes/workgroup (compile time only)
; SGPRBlocks: 3
; VGPRBlocks: 3
; NumSGPRsForWavesPerEU: 32
; NumVGPRsForWavesPerEU: 26
; AccumOffset: 28
; Occupancy: 8
; WaveLimiterHint : 1
; COMPUTE_PGM_RSRC2:SCRATCH_EN: 0
; COMPUTE_PGM_RSRC2:USER_SGPR: 2
; COMPUTE_PGM_RSRC2:TRAP_HANDLER: 0
; COMPUTE_PGM_RSRC2:TGID_X_EN: 1
; COMPUTE_PGM_RSRC2:TGID_Y_EN: 0
; COMPUTE_PGM_RSRC2:TGID_Z_EN: 1
; COMPUTE_PGM_RSRC2:TIDIG_COMP_CNT: 0
; COMPUTE_PGM_RSRC3_GFX90A:ACCUM_OFFSET: 6
; COMPUTE_PGM_RSRC3_GFX90A:TG_SPLIT: 0
	.section	.text._ZN9rocsolver6v33100L18larfg_kernel_smallILi256EdidPdEEvT1_T3_llPT2_llS4_lS3_lPT0_l,"axG",@progbits,_ZN9rocsolver6v33100L18larfg_kernel_smallILi256EdidPdEEvT1_T3_llPT2_llS4_lS3_lPT0_l,comdat
	.globl	_ZN9rocsolver6v33100L18larfg_kernel_smallILi256EdidPdEEvT1_T3_llPT2_llS4_lS3_lPT0_l ; -- Begin function _ZN9rocsolver6v33100L18larfg_kernel_smallILi256EdidPdEEvT1_T3_llPT2_llS4_lS3_lPT0_l
	.p2align	8
	.type	_ZN9rocsolver6v33100L18larfg_kernel_smallILi256EdidPdEEvT1_T3_llPT2_llS4_lS3_lPT0_l,@function
_ZN9rocsolver6v33100L18larfg_kernel_smallILi256EdidPdEEvT1_T3_llPT2_llS4_lS3_lPT0_l: ; @_ZN9rocsolver6v33100L18larfg_kernel_smallILi256EdidPdEEvT1_T3_llPT2_llS4_lS3_lPT0_l
; %bb.0:
	s_load_dwordx16 s[4:19], s[0:1], 0x8
	s_ashr_i32 s2, s3, 31
	s_mov_b64 s[20:21], 0
	s_waitcnt lgkmcnt(0)
	s_cmp_eq_u64 s[10:11], 0
	s_cbranch_scc1 .LBB2_2
; %bb.1:
	s_mul_i32 s20, s14, s2
	s_mul_hi_u32 s21, s14, s3
	s_add_i32 s20, s21, s20
	s_mul_i32 s15, s15, s3
	s_add_i32 s15, s20, s15
	s_mul_i32 s14, s14, s3
	s_lshl_b64 s[14:15], s[14:15], 3
	s_add_u32 s14, s10, s14
	s_addc_u32 s15, s11, s15
	s_lshl_b64 s[10:11], s[12:13], 3
	s_add_u32 s20, s14, s10
	s_addc_u32 s21, s15, s11
.LBB2_2:
	s_load_dwordx4 s[12:15], s[0:1], 0x50
	s_load_dword s24, s[0:1], 0x0
	s_load_dword s25, s[0:1], 0x48
	s_load_dwordx2 s[22:23], s[0:1], 0x60
	v_mov_b64_e32 v[4:5], 0
	s_waitcnt lgkmcnt(0)
	s_mul_i32 s0, s12, s2
	s_mul_hi_u32 s1, s12, s3
	s_add_i32 s0, s1, s0
	s_mul_i32 s1, s13, s3
	s_add_i32 s1, s0, s1
	s_mul_i32 s0, s12, s3
	s_lshl_b64 s[0:1], s[0:1], 3
	s_add_u32 s10, s16, s0
	s_addc_u32 s11, s17, s1
	s_lshl_b64 s[0:1], s[18:19], 3
	s_add_u32 s10, s10, s0
	s_addc_u32 s11, s11, s1
	s_add_i32 s24, s24, -1
	v_cmp_gt_i32_e64 s[0:1], s24, v0
	v_mul_lo_u32 v2, v0, s25
	s_and_saveexec_b64 s[12:13], s[0:1]
	s_cbranch_execz .LBB2_6
; %bb.3:
	v_mul_lo_u32 v6, v0, s25
	s_lshl_b32 s18, s25, 8
	v_mov_b64_e32 v[4:5], 0
	s_mov_b64 s[16:17], 0
	v_mov_b32_e32 v1, v0
.LBB2_4:                                ; =>This Inner Loop Header: Depth=1
	v_ashrrev_i32_e32 v7, 31, v6
	v_lshl_add_u64 v[8:9], v[6:7], 3, s[10:11]
	global_load_dwordx2 v[8:9], v[8:9], off
	v_add_u32_e32 v1, 0x100, v1
	v_cmp_le_i32_e32 vcc, s24, v1
	s_or_b64 s[16:17], vcc, s[16:17]
	v_add_u32_e32 v6, s18, v6
	s_waitcnt vmcnt(0)
	v_fmac_f64_e32 v[4:5], v[8:9], v[8:9]
	s_andn2_b64 exec, exec, s[16:17]
	s_cbranch_execnz .LBB2_4
; %bb.5:
	s_or_b64 exec, exec, s[16:17]
.LBB2_6:
	s_or_b64 exec, exec, s[12:13]
	v_mbcnt_lo_u32_b32 v1, -1, 0
	v_mbcnt_hi_u32_b32 v1, -1, v1
	v_and_b32_e32 v3, 63, v1
	v_cmp_ne_u32_e32 vcc, 63, v3
	s_nop 1
	v_addc_co_u32_e32 v6, vcc, 0, v1, vcc
	v_lshlrev_b32_e32 v7, 2, v6
	ds_bpermute_b32 v6, v7, v4
	ds_bpermute_b32 v7, v7, v5
	v_cmp_gt_u32_e32 vcc, 62, v3
	s_waitcnt lgkmcnt(0)
	v_add_f64 v[4:5], v[4:5], v[6:7]
	v_cndmask_b32_e64 v6, 0, 2, vcc
	v_add_lshl_u32 v7, v6, v1, 2
	ds_bpermute_b32 v6, v7, v4
	ds_bpermute_b32 v7, v7, v5
	v_cmp_gt_u32_e32 vcc, 60, v3
	s_waitcnt lgkmcnt(0)
	v_add_f64 v[4:5], v[4:5], v[6:7]
	v_cndmask_b32_e64 v6, 0, 4, vcc
	v_add_lshl_u32 v7, v6, v1, 2
	;; [unrolled: 7-line block ×4, first 2 shown]
	ds_bpermute_b32 v6, v3, v4
	ds_bpermute_b32 v7, v3, v5
	v_mov_b32_e32 v3, 0x80
	v_lshl_or_b32 v1, v1, 2, v3
	s_waitcnt lgkmcnt(0)
	v_add_f64 v[4:5], v[4:5], v[6:7]
	ds_bpermute_b32 v6, v1, v4
	ds_bpermute_b32 v7, v1, v5
	v_and_b32_e32 v1, 63, v0
	v_cmp_eq_u32_e32 vcc, 0, v1
	s_waitcnt lgkmcnt(0)
	v_add_f64 v[4:5], v[4:5], v[6:7]
	s_and_saveexec_b64 s[12:13], vcc
; %bb.7:
	v_lshrrev_b32_e32 v1, 3, v0
	ds_write_b64 v1, v[4:5]
; %bb.8:
	s_or_b64 exec, exec, s[12:13]
	v_cmp_eq_u32_e32 vcc, 0, v0
	s_waitcnt lgkmcnt(0)
	s_barrier
	s_and_saveexec_b64 s[12:13], vcc
	s_cbranch_execz .LBB2_10
; %bb.9:
	v_mov_b32_e32 v1, 0
	ds_read2_b64 v[6:9], v1 offset0:1 offset1:2
	ds_read_b64 v[10:11], v1 offset:24
	s_waitcnt lgkmcnt(1)
	v_add_f64 v[4:5], v[4:5], v[6:7]
	v_add_f64 v[4:5], v[4:5], v[8:9]
	s_waitcnt lgkmcnt(0)
	v_add_f64 v[4:5], v[4:5], v[10:11]
	ds_write_b64 v1, v[4:5]
.LBB2_10:
	s_or_b64 exec, exec, s[12:13]
	s_waitcnt lgkmcnt(0)
	s_barrier
	s_and_saveexec_b64 s[12:13], vcc
	s_cbranch_execz .LBB2_20
; %bb.11:
	s_mul_i32 s16, s8, s2
	s_mul_hi_u32 s17, s8, s3
	s_add_i32 s16, s17, s16
	s_mul_i32 s9, s9, s3
	s_add_i32 s9, s16, s9
	s_mul_i32 s8, s8, s3
	s_lshl_b64 s[8:9], s[8:9], 3
	s_add_u32 s8, s4, s8
	s_addc_u32 s9, s5, s9
	s_lshl_b64 s[4:5], s[6:7], 3
	s_add_u32 s4, s8, s4
	s_mul_i32 s2, s22, s2
	s_mul_hi_u32 s6, s22, s3
	s_addc_u32 s5, s9, s5
	s_add_i32 s2, s6, s2
	s_mul_i32 s6, s23, s3
	v_mov_b32_e32 v4, 0
	s_add_i32 s7, s2, s6
	s_mul_i32 s6, s22, s3
	ds_read_b64 v[6:7], v4
	s_lshl_b64 s[2:3], s[6:7], 3
	s_add_u32 s6, s14, s2
	s_addc_u32 s7, s15, s3
	s_cmp_eq_u64 s[20:21], 0
	s_cselect_b64 s[2:3], -1, 0
	s_cmp_lg_u64 s[20:21], 0
	s_waitcnt lgkmcnt(0)
	v_cmp_nlt_f64_e32 vcc, 0, v[6:7]
	s_mov_b64 s[14:15], 0
	s_cselect_b64 s[8:9], -1, 0
	s_cbranch_vccz .LBB2_14
; %bb.12:
	v_mov_b32_e32 v5, 0x3ff00000
	ds_write_b64 v4, v[4:5]
	v_mov_b32_e32 v5, v4
	s_mov_b64 s[18:19], 0
	s_and_b64 vcc, exec, s[8:9]
	global_store_dwordx2 v4, v[4:5], s[6:7]
	s_cbranch_vccz .LBB2_15
; %bb.13:
	v_mov_b32_e32 v1, 0
	global_load_dwordx2 v[4:5], v1, s[4:5]
	s_mov_b64 s[16:17], -1
	s_and_b64 vcc, exec, s[18:19]
	s_cbranch_vccnz .LBB2_16
	s_branch .LBB2_17
.LBB2_14:
	s_mov_b64 s[18:19], -1
.LBB2_15:
	s_mov_b64 s[16:17], 0
                                        ; implicit-def: $vgpr4_vgpr5
	s_and_b64 vcc, exec, s[18:19]
	s_cbranch_vccz .LBB2_17
.LBB2_16:
	v_mov_b32_e32 v1, 0
	global_load_dwordx2 v[8:9], v1, s[4:5]
	s_mov_b32 s14, 0
	s_brev_b32 s15, 8
	v_mov_b32_e32 v3, 0x260
	s_mov_b64 s[16:17], s[8:9]
	s_waitcnt vmcnt(0)
	v_fmac_f64_e32 v[6:7], v[8:9], v[8:9]
	v_cmp_gt_f64_e32 vcc, s[14:15], v[6:7]
	s_and_b64 s[14:15], vcc, exec
	s_cselect_b32 s14, 0x100, 0
	v_ldexp_f64 v[4:5], v[6:7], s14
	v_rsq_f64_e32 v[6:7], v[4:5]
	s_mov_b64 s[14:15], s[2:3]
	s_cselect_b32 s2, 0xffffff80, 0
	v_cmp_class_f64_e32 vcc, v[4:5], v3
	v_mul_f64 v[10:11], v[4:5], v[6:7]
	v_mul_f64 v[6:7], v[6:7], 0.5
	v_fma_f64 v[12:13], -v[6:7], v[10:11], 0.5
	v_fmac_f64_e32 v[10:11], v[10:11], v[12:13]
	v_fmac_f64_e32 v[6:7], v[6:7], v[12:13]
	v_fma_f64 v[12:13], -v[10:11], v[10:11], v[4:5]
	v_fmac_f64_e32 v[10:11], v[12:13], v[6:7]
	v_fma_f64 v[12:13], -v[10:11], v[10:11], v[4:5]
	v_fmac_f64_e32 v[10:11], v[12:13], v[6:7]
	v_ldexp_f64 v[6:7], v[10:11], s2
	v_cndmask_b32_e32 v3, v7, v5, vcc
	v_cndmask_b32_e32 v4, v6, v4, vcc
	v_xor_b32_e32 v5, 0x80000000, v3
	v_cmp_le_f64_e32 vcc, 0, v[8:9]
	s_nop 1
	v_cndmask_b32_e32 v5, v3, v5, vcc
	v_add_f64 v[6:7], v[8:9], -v[4:5]
	v_add_f64 v[8:9], v[4:5], -v[8:9]
	v_div_scale_f64 v[10:11], s[2:3], v[6:7], v[6:7], 1.0
	v_div_scale_f64 v[14:15], s[2:3], v[4:5], v[4:5], v[8:9]
	v_rcp_f64_e32 v[16:17], v[10:11]
	v_rcp_f64_e32 v[18:19], v[14:15]
	v_div_scale_f64 v[12:13], vcc, 1.0, v[6:7], 1.0
	v_fma_f64 v[22:23], -v[10:11], v[16:17], 1.0
	v_fma_f64 v[24:25], -v[14:15], v[18:19], 1.0
	v_fmac_f64_e32 v[16:17], v[16:17], v[22:23]
	v_fmac_f64_e32 v[18:19], v[18:19], v[24:25]
	v_fma_f64 v[22:23], -v[10:11], v[16:17], 1.0
	v_fma_f64 v[24:25], -v[14:15], v[18:19], 1.0
	v_fmac_f64_e32 v[16:17], v[16:17], v[22:23]
	v_div_scale_f64 v[20:21], s[2:3], v[8:9], v[4:5], v[8:9]
	v_fmac_f64_e32 v[18:19], v[18:19], v[24:25]
	v_mul_f64 v[22:23], v[12:13], v[16:17]
	v_mul_f64 v[24:25], v[20:21], v[18:19]
	v_fma_f64 v[10:11], -v[10:11], v[22:23], v[12:13]
	v_fma_f64 v[12:13], -v[14:15], v[24:25], v[20:21]
	v_div_fmas_f64 v[10:11], v[10:11], v[16:17], v[22:23]
	s_mov_b64 vcc, s[2:3]
	v_div_fixup_f64 v[6:7], v[10:11], v[6:7], 1.0
	v_div_fmas_f64 v[10:11], v[12:13], v[18:19], v[24:25]
	ds_write_b64 v1, v[6:7]
	v_div_fixup_f64 v[6:7], v[10:11], v[4:5], v[8:9]
	global_store_dwordx2 v1, v[6:7], s[6:7]
.LBB2_17:
	s_andn2_b64 vcc, exec, s[16:17]
	s_cbranch_vccz .LBB2_24
; %bb.18:
	s_andn2_b64 vcc, exec, s[14:15]
	s_cbranch_vccnz .LBB2_20
.LBB2_19:
	v_mov_b32_e32 v1, 0
	s_waitcnt vmcnt(0)
	global_store_dwordx2 v1, v[4:5], s[4:5]
.LBB2_20:
	s_or_b64 exec, exec, s[12:13]
	s_waitcnt lgkmcnt(0)
	s_barrier
	s_and_saveexec_b64 s[2:3], s[0:1]
	s_cbranch_execz .LBB2_23
; %bb.21:
	v_mov_b32_e32 v1, 0
	s_waitcnt vmcnt(0)
	ds_read_b64 v[4:5], v1
	s_lshl_b32 s2, s25, 8
	s_mov_b64 s[0:1], 0
.LBB2_22:                               ; =>This Inner Loop Header: Depth=1
	v_ashrrev_i32_e32 v3, 31, v2
	v_lshl_add_u64 v[6:7], v[2:3], 3, s[10:11]
	global_load_dwordx2 v[8:9], v[6:7], off
	v_add_u32_e32 v0, 0x100, v0
	v_cmp_le_i32_e32 vcc, s24, v0
	s_or_b64 s[0:1], vcc, s[0:1]
	v_add_u32_e32 v2, s2, v2
	s_waitcnt vmcnt(0) lgkmcnt(0)
	v_mul_f64 v[8:9], v[4:5], v[8:9]
	global_store_dwordx2 v[6:7], v[8:9], off
	s_andn2_b64 exec, exec, s[0:1]
	s_cbranch_execnz .LBB2_22
.LBB2_23:
	s_endpgm
.LBB2_24:
	v_mov_b32_e32 v1, 0
	s_waitcnt vmcnt(0)
	global_store_dwordx2 v1, v[4:5], s[20:21]
	v_mov_b64_e32 v[4:5], 1.0
	s_branch .LBB2_19
	.section	.rodata,"a",@progbits
	.p2align	6, 0x0
	.amdhsa_kernel _ZN9rocsolver6v33100L18larfg_kernel_smallILi256EdidPdEEvT1_T3_llPT2_llS4_lS3_lPT0_l
		.amdhsa_group_segment_fixed_size 32
		.amdhsa_private_segment_fixed_size 0
		.amdhsa_kernarg_size 104
		.amdhsa_user_sgpr_count 2
		.amdhsa_user_sgpr_dispatch_ptr 0
		.amdhsa_user_sgpr_queue_ptr 0
		.amdhsa_user_sgpr_kernarg_segment_ptr 1
		.amdhsa_user_sgpr_dispatch_id 0
		.amdhsa_user_sgpr_kernarg_preload_length 0
		.amdhsa_user_sgpr_kernarg_preload_offset 0
		.amdhsa_user_sgpr_private_segment_size 0
		.amdhsa_uses_dynamic_stack 0
		.amdhsa_enable_private_segment 0
		.amdhsa_system_sgpr_workgroup_id_x 1
		.amdhsa_system_sgpr_workgroup_id_y 0
		.amdhsa_system_sgpr_workgroup_id_z 1
		.amdhsa_system_sgpr_workgroup_info 0
		.amdhsa_system_vgpr_workitem_id 0
		.amdhsa_next_free_vgpr 26
		.amdhsa_next_free_sgpr 26
		.amdhsa_accum_offset 28
		.amdhsa_reserve_vcc 1
		.amdhsa_float_round_mode_32 0
		.amdhsa_float_round_mode_16_64 0
		.amdhsa_float_denorm_mode_32 3
		.amdhsa_float_denorm_mode_16_64 3
		.amdhsa_dx10_clamp 1
		.amdhsa_ieee_mode 1
		.amdhsa_fp16_overflow 0
		.amdhsa_tg_split 0
		.amdhsa_exception_fp_ieee_invalid_op 0
		.amdhsa_exception_fp_denorm_src 0
		.amdhsa_exception_fp_ieee_div_zero 0
		.amdhsa_exception_fp_ieee_overflow 0
		.amdhsa_exception_fp_ieee_underflow 0
		.amdhsa_exception_fp_ieee_inexact 0
		.amdhsa_exception_int_div_zero 0
	.end_amdhsa_kernel
	.section	.text._ZN9rocsolver6v33100L18larfg_kernel_smallILi256EdidPdEEvT1_T3_llPT2_llS4_lS3_lPT0_l,"axG",@progbits,_ZN9rocsolver6v33100L18larfg_kernel_smallILi256EdidPdEEvT1_T3_llPT2_llS4_lS3_lPT0_l,comdat
.Lfunc_end2:
	.size	_ZN9rocsolver6v33100L18larfg_kernel_smallILi256EdidPdEEvT1_T3_llPT2_llS4_lS3_lPT0_l, .Lfunc_end2-_ZN9rocsolver6v33100L18larfg_kernel_smallILi256EdidPdEEvT1_T3_llPT2_llS4_lS3_lPT0_l
                                        ; -- End function
	.set _ZN9rocsolver6v33100L18larfg_kernel_smallILi256EdidPdEEvT1_T3_llPT2_llS4_lS3_lPT0_l.num_vgpr, 26
	.set _ZN9rocsolver6v33100L18larfg_kernel_smallILi256EdidPdEEvT1_T3_llPT2_llS4_lS3_lPT0_l.num_agpr, 0
	.set _ZN9rocsolver6v33100L18larfg_kernel_smallILi256EdidPdEEvT1_T3_llPT2_llS4_lS3_lPT0_l.numbered_sgpr, 26
	.set _ZN9rocsolver6v33100L18larfg_kernel_smallILi256EdidPdEEvT1_T3_llPT2_llS4_lS3_lPT0_l.num_named_barrier, 0
	.set _ZN9rocsolver6v33100L18larfg_kernel_smallILi256EdidPdEEvT1_T3_llPT2_llS4_lS3_lPT0_l.private_seg_size, 0
	.set _ZN9rocsolver6v33100L18larfg_kernel_smallILi256EdidPdEEvT1_T3_llPT2_llS4_lS3_lPT0_l.uses_vcc, 1
	.set _ZN9rocsolver6v33100L18larfg_kernel_smallILi256EdidPdEEvT1_T3_llPT2_llS4_lS3_lPT0_l.uses_flat_scratch, 0
	.set _ZN9rocsolver6v33100L18larfg_kernel_smallILi256EdidPdEEvT1_T3_llPT2_llS4_lS3_lPT0_l.has_dyn_sized_stack, 0
	.set _ZN9rocsolver6v33100L18larfg_kernel_smallILi256EdidPdEEvT1_T3_llPT2_llS4_lS3_lPT0_l.has_recursion, 0
	.set _ZN9rocsolver6v33100L18larfg_kernel_smallILi256EdidPdEEvT1_T3_llPT2_llS4_lS3_lPT0_l.has_indirect_call, 0
	.section	.AMDGPU.csdata,"",@progbits
; Kernel info:
; codeLenInByte = 1456
; TotalNumSgprs: 32
; NumVgprs: 26
; NumAgprs: 0
; TotalNumVgprs: 26
; ScratchSize: 0
; MemoryBound: 0
; FloatMode: 240
; IeeeMode: 1
; LDSByteSize: 32 bytes/workgroup (compile time only)
; SGPRBlocks: 3
; VGPRBlocks: 3
; NumSGPRsForWavesPerEU: 32
; NumVGPRsForWavesPerEU: 26
; AccumOffset: 28
; Occupancy: 8
; WaveLimiterHint : 1
; COMPUTE_PGM_RSRC2:SCRATCH_EN: 0
; COMPUTE_PGM_RSRC2:USER_SGPR: 2
; COMPUTE_PGM_RSRC2:TRAP_HANDLER: 0
; COMPUTE_PGM_RSRC2:TGID_X_EN: 1
; COMPUTE_PGM_RSRC2:TGID_Y_EN: 0
; COMPUTE_PGM_RSRC2:TGID_Z_EN: 1
; COMPUTE_PGM_RSRC2:TIDIG_COMP_CNT: 0
; COMPUTE_PGM_RSRC3_GFX90A:ACCUM_OFFSET: 6
; COMPUTE_PGM_RSRC3_GFX90A:TG_SPLIT: 0
	.section	.text._ZN9rocsolver6v33100L18larfg_kernel_smallILi512EdidPdEEvT1_T3_llPT2_llS4_lS3_lPT0_l,"axG",@progbits,_ZN9rocsolver6v33100L18larfg_kernel_smallILi512EdidPdEEvT1_T3_llPT2_llS4_lS3_lPT0_l,comdat
	.globl	_ZN9rocsolver6v33100L18larfg_kernel_smallILi512EdidPdEEvT1_T3_llPT2_llS4_lS3_lPT0_l ; -- Begin function _ZN9rocsolver6v33100L18larfg_kernel_smallILi512EdidPdEEvT1_T3_llPT2_llS4_lS3_lPT0_l
	.p2align	8
	.type	_ZN9rocsolver6v33100L18larfg_kernel_smallILi512EdidPdEEvT1_T3_llPT2_llS4_lS3_lPT0_l,@function
_ZN9rocsolver6v33100L18larfg_kernel_smallILi512EdidPdEEvT1_T3_llPT2_llS4_lS3_lPT0_l: ; @_ZN9rocsolver6v33100L18larfg_kernel_smallILi512EdidPdEEvT1_T3_llPT2_llS4_lS3_lPT0_l
; %bb.0:
	s_load_dwordx16 s[4:19], s[0:1], 0x8
	s_ashr_i32 s2, s3, 31
	s_mov_b64 s[20:21], 0
	s_waitcnt lgkmcnt(0)
	s_cmp_eq_u64 s[10:11], 0
	s_cbranch_scc1 .LBB3_2
; %bb.1:
	s_mul_i32 s20, s14, s2
	s_mul_hi_u32 s21, s14, s3
	s_add_i32 s20, s21, s20
	s_mul_i32 s15, s15, s3
	s_add_i32 s15, s20, s15
	s_mul_i32 s14, s14, s3
	s_lshl_b64 s[14:15], s[14:15], 3
	s_add_u32 s14, s10, s14
	s_addc_u32 s15, s11, s15
	s_lshl_b64 s[10:11], s[12:13], 3
	s_add_u32 s20, s14, s10
	s_addc_u32 s21, s15, s11
.LBB3_2:
	s_load_dwordx4 s[12:15], s[0:1], 0x50
	s_load_dword s24, s[0:1], 0x0
	s_load_dword s25, s[0:1], 0x48
	s_load_dwordx2 s[22:23], s[0:1], 0x60
	v_mov_b64_e32 v[4:5], 0
	s_waitcnt lgkmcnt(0)
	s_mul_i32 s0, s12, s2
	s_mul_hi_u32 s1, s12, s3
	s_add_i32 s0, s1, s0
	s_mul_i32 s1, s13, s3
	s_add_i32 s1, s0, s1
	s_mul_i32 s0, s12, s3
	s_lshl_b64 s[0:1], s[0:1], 3
	s_add_u32 s10, s16, s0
	s_addc_u32 s11, s17, s1
	s_lshl_b64 s[0:1], s[18:19], 3
	s_add_u32 s10, s10, s0
	s_addc_u32 s11, s11, s1
	s_add_i32 s24, s24, -1
	v_cmp_gt_i32_e64 s[0:1], s24, v0
	v_mul_lo_u32 v2, v0, s25
	s_and_saveexec_b64 s[12:13], s[0:1]
	s_cbranch_execz .LBB3_6
; %bb.3:
	v_mul_lo_u32 v6, v0, s25
	s_lshl_b32 s18, s25, 9
	v_mov_b64_e32 v[4:5], 0
	s_mov_b64 s[16:17], 0
	v_mov_b32_e32 v1, v0
.LBB3_4:                                ; =>This Inner Loop Header: Depth=1
	v_ashrrev_i32_e32 v7, 31, v6
	v_lshl_add_u64 v[8:9], v[6:7], 3, s[10:11]
	global_load_dwordx2 v[8:9], v[8:9], off
	v_add_u32_e32 v1, 0x200, v1
	v_cmp_le_i32_e32 vcc, s24, v1
	s_or_b64 s[16:17], vcc, s[16:17]
	v_add_u32_e32 v6, s18, v6
	s_waitcnt vmcnt(0)
	v_fmac_f64_e32 v[4:5], v[8:9], v[8:9]
	s_andn2_b64 exec, exec, s[16:17]
	s_cbranch_execnz .LBB3_4
; %bb.5:
	s_or_b64 exec, exec, s[16:17]
.LBB3_6:
	s_or_b64 exec, exec, s[12:13]
	v_mbcnt_lo_u32_b32 v1, -1, 0
	v_mbcnt_hi_u32_b32 v1, -1, v1
	v_and_b32_e32 v3, 63, v1
	v_cmp_ne_u32_e32 vcc, 63, v3
	s_nop 1
	v_addc_co_u32_e32 v6, vcc, 0, v1, vcc
	v_lshlrev_b32_e32 v7, 2, v6
	ds_bpermute_b32 v6, v7, v4
	ds_bpermute_b32 v7, v7, v5
	v_cmp_gt_u32_e32 vcc, 62, v3
	s_waitcnt lgkmcnt(0)
	v_add_f64 v[4:5], v[4:5], v[6:7]
	v_cndmask_b32_e64 v6, 0, 2, vcc
	v_add_lshl_u32 v7, v6, v1, 2
	ds_bpermute_b32 v6, v7, v4
	ds_bpermute_b32 v7, v7, v5
	v_cmp_gt_u32_e32 vcc, 60, v3
	s_waitcnt lgkmcnt(0)
	v_add_f64 v[4:5], v[4:5], v[6:7]
	v_cndmask_b32_e64 v6, 0, 4, vcc
	v_add_lshl_u32 v7, v6, v1, 2
	;; [unrolled: 7-line block ×4, first 2 shown]
	ds_bpermute_b32 v6, v3, v4
	ds_bpermute_b32 v7, v3, v5
	v_mov_b32_e32 v3, 0x80
	v_lshl_or_b32 v1, v1, 2, v3
	s_waitcnt lgkmcnt(0)
	v_add_f64 v[4:5], v[4:5], v[6:7]
	ds_bpermute_b32 v6, v1, v4
	ds_bpermute_b32 v7, v1, v5
	v_and_b32_e32 v1, 63, v0
	v_cmp_eq_u32_e32 vcc, 0, v1
	s_waitcnt lgkmcnt(0)
	v_add_f64 v[4:5], v[4:5], v[6:7]
	s_and_saveexec_b64 s[12:13], vcc
; %bb.7:
	v_lshrrev_b32_e32 v1, 3, v0
	ds_write_b64 v1, v[4:5]
; %bb.8:
	s_or_b64 exec, exec, s[12:13]
	v_cmp_eq_u32_e32 vcc, 0, v0
	s_waitcnt lgkmcnt(0)
	s_barrier
	s_and_saveexec_b64 s[12:13], vcc
	s_cbranch_execz .LBB3_10
; %bb.9:
	v_mov_b32_e32 v1, 0
	ds_read2_b64 v[6:9], v1 offset0:1 offset1:2
	ds_read2_b64 v[10:13], v1 offset0:3 offset1:4
	;; [unrolled: 1-line block ×3, first 2 shown]
	s_waitcnt lgkmcnt(2)
	v_add_f64 v[4:5], v[4:5], v[6:7]
	v_add_f64 v[4:5], v[4:5], v[8:9]
	ds_read_b64 v[6:7], v1 offset:56
	s_waitcnt lgkmcnt(2)
	v_add_f64 v[4:5], v[4:5], v[10:11]
	v_add_f64 v[4:5], v[4:5], v[12:13]
	s_waitcnt lgkmcnt(1)
	v_add_f64 v[4:5], v[4:5], v[14:15]
	v_add_f64 v[4:5], v[4:5], v[16:17]
	s_waitcnt lgkmcnt(0)
	v_add_f64 v[4:5], v[4:5], v[6:7]
	ds_write_b64 v1, v[4:5]
.LBB3_10:
	s_or_b64 exec, exec, s[12:13]
	s_waitcnt lgkmcnt(0)
	s_barrier
	s_and_saveexec_b64 s[12:13], vcc
	s_cbranch_execz .LBB3_20
; %bb.11:
	s_mul_i32 s16, s8, s2
	s_mul_hi_u32 s17, s8, s3
	s_add_i32 s16, s17, s16
	s_mul_i32 s9, s9, s3
	s_add_i32 s9, s16, s9
	s_mul_i32 s8, s8, s3
	s_lshl_b64 s[8:9], s[8:9], 3
	s_add_u32 s8, s4, s8
	s_addc_u32 s9, s5, s9
	s_lshl_b64 s[4:5], s[6:7], 3
	s_add_u32 s4, s8, s4
	s_mul_i32 s2, s22, s2
	s_mul_hi_u32 s6, s22, s3
	s_addc_u32 s5, s9, s5
	s_add_i32 s2, s6, s2
	s_mul_i32 s6, s23, s3
	v_mov_b32_e32 v4, 0
	s_add_i32 s7, s2, s6
	s_mul_i32 s6, s22, s3
	ds_read_b64 v[6:7], v4
	s_lshl_b64 s[2:3], s[6:7], 3
	s_add_u32 s6, s14, s2
	s_addc_u32 s7, s15, s3
	s_cmp_eq_u64 s[20:21], 0
	s_cselect_b64 s[2:3], -1, 0
	s_cmp_lg_u64 s[20:21], 0
	s_waitcnt lgkmcnt(0)
	v_cmp_nlt_f64_e32 vcc, 0, v[6:7]
	s_mov_b64 s[14:15], 0
	s_cselect_b64 s[8:9], -1, 0
	s_cbranch_vccz .LBB3_14
; %bb.12:
	v_mov_b32_e32 v5, 0x3ff00000
	ds_write_b64 v4, v[4:5]
	v_mov_b32_e32 v5, v4
	s_mov_b64 s[18:19], 0
	s_and_b64 vcc, exec, s[8:9]
	global_store_dwordx2 v4, v[4:5], s[6:7]
	s_cbranch_vccz .LBB3_15
; %bb.13:
	v_mov_b32_e32 v1, 0
	global_load_dwordx2 v[4:5], v1, s[4:5]
	s_mov_b64 s[16:17], -1
	s_and_b64 vcc, exec, s[18:19]
	s_cbranch_vccnz .LBB3_16
	s_branch .LBB3_17
.LBB3_14:
	s_mov_b64 s[18:19], -1
.LBB3_15:
	s_mov_b64 s[16:17], 0
                                        ; implicit-def: $vgpr4_vgpr5
	s_and_b64 vcc, exec, s[18:19]
	s_cbranch_vccz .LBB3_17
.LBB3_16:
	v_mov_b32_e32 v1, 0
	global_load_dwordx2 v[8:9], v1, s[4:5]
	s_mov_b32 s14, 0
	s_brev_b32 s15, 8
	v_mov_b32_e32 v3, 0x260
	s_mov_b64 s[16:17], s[8:9]
	s_waitcnt vmcnt(0)
	v_fmac_f64_e32 v[6:7], v[8:9], v[8:9]
	v_cmp_gt_f64_e32 vcc, s[14:15], v[6:7]
	s_and_b64 s[14:15], vcc, exec
	s_cselect_b32 s14, 0x100, 0
	v_ldexp_f64 v[4:5], v[6:7], s14
	v_rsq_f64_e32 v[6:7], v[4:5]
	s_mov_b64 s[14:15], s[2:3]
	s_cselect_b32 s2, 0xffffff80, 0
	v_cmp_class_f64_e32 vcc, v[4:5], v3
	v_mul_f64 v[10:11], v[4:5], v[6:7]
	v_mul_f64 v[6:7], v[6:7], 0.5
	v_fma_f64 v[12:13], -v[6:7], v[10:11], 0.5
	v_fmac_f64_e32 v[10:11], v[10:11], v[12:13]
	v_fmac_f64_e32 v[6:7], v[6:7], v[12:13]
	v_fma_f64 v[12:13], -v[10:11], v[10:11], v[4:5]
	v_fmac_f64_e32 v[10:11], v[12:13], v[6:7]
	v_fma_f64 v[12:13], -v[10:11], v[10:11], v[4:5]
	v_fmac_f64_e32 v[10:11], v[12:13], v[6:7]
	v_ldexp_f64 v[6:7], v[10:11], s2
	v_cndmask_b32_e32 v3, v7, v5, vcc
	v_cndmask_b32_e32 v4, v6, v4, vcc
	v_xor_b32_e32 v5, 0x80000000, v3
	v_cmp_le_f64_e32 vcc, 0, v[8:9]
	s_nop 1
	v_cndmask_b32_e32 v5, v3, v5, vcc
	v_add_f64 v[6:7], v[8:9], -v[4:5]
	v_add_f64 v[8:9], v[4:5], -v[8:9]
	v_div_scale_f64 v[10:11], s[2:3], v[6:7], v[6:7], 1.0
	v_div_scale_f64 v[14:15], s[2:3], v[4:5], v[4:5], v[8:9]
	v_rcp_f64_e32 v[16:17], v[10:11]
	v_rcp_f64_e32 v[18:19], v[14:15]
	v_div_scale_f64 v[12:13], vcc, 1.0, v[6:7], 1.0
	v_fma_f64 v[22:23], -v[10:11], v[16:17], 1.0
	v_fma_f64 v[24:25], -v[14:15], v[18:19], 1.0
	v_fmac_f64_e32 v[16:17], v[16:17], v[22:23]
	v_fmac_f64_e32 v[18:19], v[18:19], v[24:25]
	v_fma_f64 v[22:23], -v[10:11], v[16:17], 1.0
	v_fma_f64 v[24:25], -v[14:15], v[18:19], 1.0
	v_fmac_f64_e32 v[16:17], v[16:17], v[22:23]
	v_div_scale_f64 v[20:21], s[2:3], v[8:9], v[4:5], v[8:9]
	v_fmac_f64_e32 v[18:19], v[18:19], v[24:25]
	v_mul_f64 v[22:23], v[12:13], v[16:17]
	v_mul_f64 v[24:25], v[20:21], v[18:19]
	v_fma_f64 v[10:11], -v[10:11], v[22:23], v[12:13]
	v_fma_f64 v[12:13], -v[14:15], v[24:25], v[20:21]
	v_div_fmas_f64 v[10:11], v[10:11], v[16:17], v[22:23]
	s_mov_b64 vcc, s[2:3]
	v_div_fixup_f64 v[6:7], v[10:11], v[6:7], 1.0
	v_div_fmas_f64 v[10:11], v[12:13], v[18:19], v[24:25]
	ds_write_b64 v1, v[6:7]
	v_div_fixup_f64 v[6:7], v[10:11], v[4:5], v[8:9]
	global_store_dwordx2 v1, v[6:7], s[6:7]
.LBB3_17:
	s_andn2_b64 vcc, exec, s[16:17]
	s_cbranch_vccz .LBB3_24
; %bb.18:
	s_andn2_b64 vcc, exec, s[14:15]
	s_cbranch_vccnz .LBB3_20
.LBB3_19:
	v_mov_b32_e32 v1, 0
	s_waitcnt vmcnt(0)
	global_store_dwordx2 v1, v[4:5], s[4:5]
.LBB3_20:
	s_or_b64 exec, exec, s[12:13]
	s_waitcnt lgkmcnt(0)
	s_barrier
	s_and_saveexec_b64 s[2:3], s[0:1]
	s_cbranch_execz .LBB3_23
; %bb.21:
	v_mov_b32_e32 v1, 0
	s_waitcnt vmcnt(0)
	ds_read_b64 v[4:5], v1
	s_lshl_b32 s2, s25, 9
	s_mov_b64 s[0:1], 0
.LBB3_22:                               ; =>This Inner Loop Header: Depth=1
	v_ashrrev_i32_e32 v3, 31, v2
	v_lshl_add_u64 v[6:7], v[2:3], 3, s[10:11]
	global_load_dwordx2 v[8:9], v[6:7], off
	v_add_u32_e32 v0, 0x200, v0
	v_cmp_le_i32_e32 vcc, s24, v0
	s_or_b64 s[0:1], vcc, s[0:1]
	v_add_u32_e32 v2, s2, v2
	s_waitcnt vmcnt(0) lgkmcnt(0)
	v_mul_f64 v[8:9], v[4:5], v[8:9]
	global_store_dwordx2 v[6:7], v[8:9], off
	s_andn2_b64 exec, exec, s[0:1]
	s_cbranch_execnz .LBB3_22
.LBB3_23:
	s_endpgm
.LBB3_24:
	v_mov_b32_e32 v1, 0
	s_waitcnt vmcnt(0)
	global_store_dwordx2 v1, v[4:5], s[20:21]
	v_mov_b64_e32 v[4:5], 1.0
	s_branch .LBB3_19
	.section	.rodata,"a",@progbits
	.p2align	6, 0x0
	.amdhsa_kernel _ZN9rocsolver6v33100L18larfg_kernel_smallILi512EdidPdEEvT1_T3_llPT2_llS4_lS3_lPT0_l
		.amdhsa_group_segment_fixed_size 64
		.amdhsa_private_segment_fixed_size 0
		.amdhsa_kernarg_size 104
		.amdhsa_user_sgpr_count 2
		.amdhsa_user_sgpr_dispatch_ptr 0
		.amdhsa_user_sgpr_queue_ptr 0
		.amdhsa_user_sgpr_kernarg_segment_ptr 1
		.amdhsa_user_sgpr_dispatch_id 0
		.amdhsa_user_sgpr_kernarg_preload_length 0
		.amdhsa_user_sgpr_kernarg_preload_offset 0
		.amdhsa_user_sgpr_private_segment_size 0
		.amdhsa_uses_dynamic_stack 0
		.amdhsa_enable_private_segment 0
		.amdhsa_system_sgpr_workgroup_id_x 1
		.amdhsa_system_sgpr_workgroup_id_y 0
		.amdhsa_system_sgpr_workgroup_id_z 1
		.amdhsa_system_sgpr_workgroup_info 0
		.amdhsa_system_vgpr_workitem_id 0
		.amdhsa_next_free_vgpr 26
		.amdhsa_next_free_sgpr 26
		.amdhsa_accum_offset 28
		.amdhsa_reserve_vcc 1
		.amdhsa_float_round_mode_32 0
		.amdhsa_float_round_mode_16_64 0
		.amdhsa_float_denorm_mode_32 3
		.amdhsa_float_denorm_mode_16_64 3
		.amdhsa_dx10_clamp 1
		.amdhsa_ieee_mode 1
		.amdhsa_fp16_overflow 0
		.amdhsa_tg_split 0
		.amdhsa_exception_fp_ieee_invalid_op 0
		.amdhsa_exception_fp_denorm_src 0
		.amdhsa_exception_fp_ieee_div_zero 0
		.amdhsa_exception_fp_ieee_overflow 0
		.amdhsa_exception_fp_ieee_underflow 0
		.amdhsa_exception_fp_ieee_inexact 0
		.amdhsa_exception_int_div_zero 0
	.end_amdhsa_kernel
	.section	.text._ZN9rocsolver6v33100L18larfg_kernel_smallILi512EdidPdEEvT1_T3_llPT2_llS4_lS3_lPT0_l,"axG",@progbits,_ZN9rocsolver6v33100L18larfg_kernel_smallILi512EdidPdEEvT1_T3_llPT2_llS4_lS3_lPT0_l,comdat
.Lfunc_end3:
	.size	_ZN9rocsolver6v33100L18larfg_kernel_smallILi512EdidPdEEvT1_T3_llPT2_llS4_lS3_lPT0_l, .Lfunc_end3-_ZN9rocsolver6v33100L18larfg_kernel_smallILi512EdidPdEEvT1_T3_llPT2_llS4_lS3_lPT0_l
                                        ; -- End function
	.set _ZN9rocsolver6v33100L18larfg_kernel_smallILi512EdidPdEEvT1_T3_llPT2_llS4_lS3_lPT0_l.num_vgpr, 26
	.set _ZN9rocsolver6v33100L18larfg_kernel_smallILi512EdidPdEEvT1_T3_llPT2_llS4_lS3_lPT0_l.num_agpr, 0
	.set _ZN9rocsolver6v33100L18larfg_kernel_smallILi512EdidPdEEvT1_T3_llPT2_llS4_lS3_lPT0_l.numbered_sgpr, 26
	.set _ZN9rocsolver6v33100L18larfg_kernel_smallILi512EdidPdEEvT1_T3_llPT2_llS4_lS3_lPT0_l.num_named_barrier, 0
	.set _ZN9rocsolver6v33100L18larfg_kernel_smallILi512EdidPdEEvT1_T3_llPT2_llS4_lS3_lPT0_l.private_seg_size, 0
	.set _ZN9rocsolver6v33100L18larfg_kernel_smallILi512EdidPdEEvT1_T3_llPT2_llS4_lS3_lPT0_l.uses_vcc, 1
	.set _ZN9rocsolver6v33100L18larfg_kernel_smallILi512EdidPdEEvT1_T3_llPT2_llS4_lS3_lPT0_l.uses_flat_scratch, 0
	.set _ZN9rocsolver6v33100L18larfg_kernel_smallILi512EdidPdEEvT1_T3_llPT2_llS4_lS3_lPT0_l.has_dyn_sized_stack, 0
	.set _ZN9rocsolver6v33100L18larfg_kernel_smallILi512EdidPdEEvT1_T3_llPT2_llS4_lS3_lPT0_l.has_recursion, 0
	.set _ZN9rocsolver6v33100L18larfg_kernel_smallILi512EdidPdEEvT1_T3_llPT2_llS4_lS3_lPT0_l.has_indirect_call, 0
	.section	.AMDGPU.csdata,"",@progbits
; Kernel info:
; codeLenInByte = 1512
; TotalNumSgprs: 32
; NumVgprs: 26
; NumAgprs: 0
; TotalNumVgprs: 26
; ScratchSize: 0
; MemoryBound: 0
; FloatMode: 240
; IeeeMode: 1
; LDSByteSize: 64 bytes/workgroup (compile time only)
; SGPRBlocks: 3
; VGPRBlocks: 3
; NumSGPRsForWavesPerEU: 32
; NumVGPRsForWavesPerEU: 26
; AccumOffset: 28
; Occupancy: 8
; WaveLimiterHint : 1
; COMPUTE_PGM_RSRC2:SCRATCH_EN: 0
; COMPUTE_PGM_RSRC2:USER_SGPR: 2
; COMPUTE_PGM_RSRC2:TRAP_HANDLER: 0
; COMPUTE_PGM_RSRC2:TGID_X_EN: 1
; COMPUTE_PGM_RSRC2:TGID_Y_EN: 0
; COMPUTE_PGM_RSRC2:TGID_Z_EN: 1
; COMPUTE_PGM_RSRC2:TIDIG_COMP_CNT: 0
; COMPUTE_PGM_RSRC3_GFX90A:ACCUM_OFFSET: 6
; COMPUTE_PGM_RSRC3_GFX90A:TG_SPLIT: 0
	.section	.text._ZN9rocsolver6v33100L18larfg_kernel_smallILi1024EdidPdEEvT1_T3_llPT2_llS4_lS3_lPT0_l,"axG",@progbits,_ZN9rocsolver6v33100L18larfg_kernel_smallILi1024EdidPdEEvT1_T3_llPT2_llS4_lS3_lPT0_l,comdat
	.globl	_ZN9rocsolver6v33100L18larfg_kernel_smallILi1024EdidPdEEvT1_T3_llPT2_llS4_lS3_lPT0_l ; -- Begin function _ZN9rocsolver6v33100L18larfg_kernel_smallILi1024EdidPdEEvT1_T3_llPT2_llS4_lS3_lPT0_l
	.p2align	8
	.type	_ZN9rocsolver6v33100L18larfg_kernel_smallILi1024EdidPdEEvT1_T3_llPT2_llS4_lS3_lPT0_l,@function
_ZN9rocsolver6v33100L18larfg_kernel_smallILi1024EdidPdEEvT1_T3_llPT2_llS4_lS3_lPT0_l: ; @_ZN9rocsolver6v33100L18larfg_kernel_smallILi1024EdidPdEEvT1_T3_llPT2_llS4_lS3_lPT0_l
; %bb.0:
	s_load_dwordx16 s[4:19], s[0:1], 0x8
	s_ashr_i32 s2, s3, 31
	s_mov_b64 s[20:21], 0
	s_waitcnt lgkmcnt(0)
	s_cmp_eq_u64 s[10:11], 0
	s_cbranch_scc1 .LBB4_2
; %bb.1:
	s_mul_i32 s20, s14, s2
	s_mul_hi_u32 s21, s14, s3
	s_add_i32 s20, s21, s20
	s_mul_i32 s15, s15, s3
	s_add_i32 s15, s20, s15
	s_mul_i32 s14, s14, s3
	s_lshl_b64 s[14:15], s[14:15], 3
	s_add_u32 s14, s10, s14
	s_addc_u32 s15, s11, s15
	s_lshl_b64 s[10:11], s[12:13], 3
	s_add_u32 s20, s14, s10
	s_addc_u32 s21, s15, s11
.LBB4_2:
	s_load_dwordx4 s[12:15], s[0:1], 0x50
	s_load_dword s24, s[0:1], 0x0
	s_load_dword s25, s[0:1], 0x48
	s_load_dwordx2 s[22:23], s[0:1], 0x60
	v_mov_b64_e32 v[4:5], 0
	s_waitcnt lgkmcnt(0)
	s_mul_i32 s0, s12, s2
	s_mul_hi_u32 s1, s12, s3
	s_add_i32 s0, s1, s0
	s_mul_i32 s1, s13, s3
	s_add_i32 s1, s0, s1
	s_mul_i32 s0, s12, s3
	s_lshl_b64 s[0:1], s[0:1], 3
	s_add_u32 s10, s16, s0
	s_addc_u32 s11, s17, s1
	s_lshl_b64 s[0:1], s[18:19], 3
	s_add_u32 s10, s10, s0
	s_addc_u32 s11, s11, s1
	s_add_i32 s24, s24, -1
	v_cmp_gt_i32_e64 s[0:1], s24, v0
	v_mul_lo_u32 v2, v0, s25
	s_and_saveexec_b64 s[12:13], s[0:1]
	s_cbranch_execz .LBB4_6
; %bb.3:
	v_mul_lo_u32 v6, v0, s25
	s_lshl_b32 s18, s25, 10
	v_mov_b64_e32 v[4:5], 0
	s_mov_b64 s[16:17], 0
	v_mov_b32_e32 v1, v0
.LBB4_4:                                ; =>This Inner Loop Header: Depth=1
	v_ashrrev_i32_e32 v7, 31, v6
	v_lshl_add_u64 v[8:9], v[6:7], 3, s[10:11]
	global_load_dwordx2 v[8:9], v[8:9], off
	v_add_u32_e32 v1, 0x400, v1
	v_cmp_le_i32_e32 vcc, s24, v1
	s_or_b64 s[16:17], vcc, s[16:17]
	v_add_u32_e32 v6, s18, v6
	s_waitcnt vmcnt(0)
	v_fmac_f64_e32 v[4:5], v[8:9], v[8:9]
	s_andn2_b64 exec, exec, s[16:17]
	s_cbranch_execnz .LBB4_4
; %bb.5:
	s_or_b64 exec, exec, s[16:17]
.LBB4_6:
	s_or_b64 exec, exec, s[12:13]
	v_mbcnt_lo_u32_b32 v1, -1, 0
	v_mbcnt_hi_u32_b32 v1, -1, v1
	v_and_b32_e32 v3, 63, v1
	v_cmp_ne_u32_e32 vcc, 63, v3
	s_nop 1
	v_addc_co_u32_e32 v6, vcc, 0, v1, vcc
	v_lshlrev_b32_e32 v7, 2, v6
	ds_bpermute_b32 v6, v7, v4
	ds_bpermute_b32 v7, v7, v5
	v_cmp_gt_u32_e32 vcc, 62, v3
	s_waitcnt lgkmcnt(0)
	v_add_f64 v[4:5], v[4:5], v[6:7]
	v_cndmask_b32_e64 v6, 0, 2, vcc
	v_add_lshl_u32 v7, v6, v1, 2
	ds_bpermute_b32 v6, v7, v4
	ds_bpermute_b32 v7, v7, v5
	v_cmp_gt_u32_e32 vcc, 60, v3
	s_waitcnt lgkmcnt(0)
	v_add_f64 v[4:5], v[4:5], v[6:7]
	v_cndmask_b32_e64 v6, 0, 4, vcc
	v_add_lshl_u32 v7, v6, v1, 2
	;; [unrolled: 7-line block ×4, first 2 shown]
	ds_bpermute_b32 v6, v3, v4
	ds_bpermute_b32 v7, v3, v5
	v_mov_b32_e32 v3, 0x80
	v_lshl_or_b32 v1, v1, 2, v3
	s_waitcnt lgkmcnt(0)
	v_add_f64 v[4:5], v[4:5], v[6:7]
	ds_bpermute_b32 v6, v1, v4
	ds_bpermute_b32 v7, v1, v5
	v_and_b32_e32 v1, 63, v0
	v_cmp_eq_u32_e32 vcc, 0, v1
	s_waitcnt lgkmcnt(0)
	v_add_f64 v[4:5], v[4:5], v[6:7]
	s_and_saveexec_b64 s[12:13], vcc
; %bb.7:
	v_lshrrev_b32_e32 v1, 3, v0
	ds_write_b64 v1, v[4:5]
; %bb.8:
	s_or_b64 exec, exec, s[12:13]
	v_cmp_eq_u32_e32 vcc, 0, v0
	s_waitcnt lgkmcnt(0)
	s_barrier
	s_and_saveexec_b64 s[12:13], vcc
	s_cbranch_execz .LBB4_10
; %bb.9:
	v_mov_b32_e32 v1, 0
	ds_read2_b64 v[6:9], v1 offset0:1 offset1:2
	ds_read2_b64 v[10:13], v1 offset0:3 offset1:4
	;; [unrolled: 1-line block ×5, first 2 shown]
	s_waitcnt lgkmcnt(4)
	v_add_f64 v[4:5], v[4:5], v[6:7]
	v_add_f64 v[4:5], v[4:5], v[8:9]
	s_waitcnt lgkmcnt(3)
	v_add_f64 v[4:5], v[4:5], v[10:11]
	v_add_f64 v[4:5], v[4:5], v[12:13]
	;; [unrolled: 3-line block ×4, first 2 shown]
	ds_read2_b64 v[4:7], v1 offset0:11 offset1:12
	s_waitcnt lgkmcnt(1)
	v_add_f64 v[12:13], v[8:9], v[22:23]
	ds_read2_b64 v[8:11], v1 offset0:13 offset1:14
	v_add_f64 v[12:13], v[12:13], v[24:25]
	ds_read_b64 v[14:15], v1 offset:120
	s_waitcnt lgkmcnt(2)
	v_add_f64 v[4:5], v[12:13], v[4:5]
	v_add_f64 v[4:5], v[4:5], v[6:7]
	s_waitcnt lgkmcnt(1)
	v_add_f64 v[4:5], v[4:5], v[8:9]
	v_add_f64 v[4:5], v[4:5], v[10:11]
	s_waitcnt lgkmcnt(0)
	v_add_f64 v[4:5], v[4:5], v[14:15]
	ds_write_b64 v1, v[4:5]
.LBB4_10:
	s_or_b64 exec, exec, s[12:13]
	s_waitcnt lgkmcnt(0)
	s_barrier
	s_and_saveexec_b64 s[12:13], vcc
	s_cbranch_execz .LBB4_20
; %bb.11:
	s_mul_i32 s16, s8, s2
	s_mul_hi_u32 s17, s8, s3
	s_add_i32 s16, s17, s16
	s_mul_i32 s9, s9, s3
	s_add_i32 s9, s16, s9
	s_mul_i32 s8, s8, s3
	s_lshl_b64 s[8:9], s[8:9], 3
	s_add_u32 s8, s4, s8
	s_addc_u32 s9, s5, s9
	s_lshl_b64 s[4:5], s[6:7], 3
	s_add_u32 s4, s8, s4
	s_mul_i32 s2, s22, s2
	s_mul_hi_u32 s6, s22, s3
	s_addc_u32 s5, s9, s5
	s_add_i32 s2, s6, s2
	s_mul_i32 s6, s23, s3
	v_mov_b32_e32 v4, 0
	s_add_i32 s7, s2, s6
	s_mul_i32 s6, s22, s3
	ds_read_b64 v[6:7], v4
	s_lshl_b64 s[2:3], s[6:7], 3
	s_add_u32 s6, s14, s2
	s_addc_u32 s7, s15, s3
	s_cmp_eq_u64 s[20:21], 0
	s_cselect_b64 s[2:3], -1, 0
	s_cmp_lg_u64 s[20:21], 0
	s_waitcnt lgkmcnt(0)
	v_cmp_nlt_f64_e32 vcc, 0, v[6:7]
	s_mov_b64 s[14:15], 0
	s_cselect_b64 s[8:9], -1, 0
	s_cbranch_vccz .LBB4_14
; %bb.12:
	v_mov_b32_e32 v5, 0x3ff00000
	ds_write_b64 v4, v[4:5]
	v_mov_b32_e32 v5, v4
	s_mov_b64 s[18:19], 0
	s_and_b64 vcc, exec, s[8:9]
	global_store_dwordx2 v4, v[4:5], s[6:7]
	s_cbranch_vccz .LBB4_15
; %bb.13:
	v_mov_b32_e32 v1, 0
	global_load_dwordx2 v[4:5], v1, s[4:5]
	s_mov_b64 s[16:17], -1
	s_and_b64 vcc, exec, s[18:19]
	s_cbranch_vccnz .LBB4_16
	s_branch .LBB4_17
.LBB4_14:
	s_mov_b64 s[18:19], -1
.LBB4_15:
	s_mov_b64 s[16:17], 0
                                        ; implicit-def: $vgpr4_vgpr5
	s_and_b64 vcc, exec, s[18:19]
	s_cbranch_vccz .LBB4_17
.LBB4_16:
	v_mov_b32_e32 v1, 0
	global_load_dwordx2 v[8:9], v1, s[4:5]
	s_mov_b32 s14, 0
	s_brev_b32 s15, 8
	v_mov_b32_e32 v3, 0x260
	s_mov_b64 s[16:17], s[8:9]
	s_waitcnt vmcnt(0)
	v_fmac_f64_e32 v[6:7], v[8:9], v[8:9]
	v_cmp_gt_f64_e32 vcc, s[14:15], v[6:7]
	s_and_b64 s[14:15], vcc, exec
	s_cselect_b32 s14, 0x100, 0
	v_ldexp_f64 v[4:5], v[6:7], s14
	v_rsq_f64_e32 v[6:7], v[4:5]
	s_mov_b64 s[14:15], s[2:3]
	s_cselect_b32 s2, 0xffffff80, 0
	v_cmp_class_f64_e32 vcc, v[4:5], v3
	v_mul_f64 v[10:11], v[4:5], v[6:7]
	v_mul_f64 v[6:7], v[6:7], 0.5
	v_fma_f64 v[12:13], -v[6:7], v[10:11], 0.5
	v_fmac_f64_e32 v[10:11], v[10:11], v[12:13]
	v_fmac_f64_e32 v[6:7], v[6:7], v[12:13]
	v_fma_f64 v[12:13], -v[10:11], v[10:11], v[4:5]
	v_fmac_f64_e32 v[10:11], v[12:13], v[6:7]
	v_fma_f64 v[12:13], -v[10:11], v[10:11], v[4:5]
	v_fmac_f64_e32 v[10:11], v[12:13], v[6:7]
	v_ldexp_f64 v[6:7], v[10:11], s2
	v_cndmask_b32_e32 v3, v7, v5, vcc
	v_cndmask_b32_e32 v4, v6, v4, vcc
	v_xor_b32_e32 v5, 0x80000000, v3
	v_cmp_le_f64_e32 vcc, 0, v[8:9]
	s_nop 1
	v_cndmask_b32_e32 v5, v3, v5, vcc
	v_add_f64 v[6:7], v[8:9], -v[4:5]
	v_add_f64 v[8:9], v[4:5], -v[8:9]
	v_div_scale_f64 v[10:11], s[2:3], v[6:7], v[6:7], 1.0
	v_div_scale_f64 v[14:15], s[2:3], v[4:5], v[4:5], v[8:9]
	v_rcp_f64_e32 v[16:17], v[10:11]
	v_rcp_f64_e32 v[18:19], v[14:15]
	v_div_scale_f64 v[12:13], vcc, 1.0, v[6:7], 1.0
	v_fma_f64 v[22:23], -v[10:11], v[16:17], 1.0
	v_fma_f64 v[24:25], -v[14:15], v[18:19], 1.0
	v_fmac_f64_e32 v[16:17], v[16:17], v[22:23]
	v_fmac_f64_e32 v[18:19], v[18:19], v[24:25]
	v_fma_f64 v[22:23], -v[10:11], v[16:17], 1.0
	v_fma_f64 v[24:25], -v[14:15], v[18:19], 1.0
	v_fmac_f64_e32 v[16:17], v[16:17], v[22:23]
	v_div_scale_f64 v[20:21], s[2:3], v[8:9], v[4:5], v[8:9]
	v_fmac_f64_e32 v[18:19], v[18:19], v[24:25]
	v_mul_f64 v[22:23], v[12:13], v[16:17]
	v_mul_f64 v[24:25], v[20:21], v[18:19]
	v_fma_f64 v[10:11], -v[10:11], v[22:23], v[12:13]
	v_fma_f64 v[12:13], -v[14:15], v[24:25], v[20:21]
	v_div_fmas_f64 v[10:11], v[10:11], v[16:17], v[22:23]
	s_mov_b64 vcc, s[2:3]
	v_div_fixup_f64 v[6:7], v[10:11], v[6:7], 1.0
	v_div_fmas_f64 v[10:11], v[12:13], v[18:19], v[24:25]
	ds_write_b64 v1, v[6:7]
	v_div_fixup_f64 v[6:7], v[10:11], v[4:5], v[8:9]
	global_store_dwordx2 v1, v[6:7], s[6:7]
.LBB4_17:
	s_andn2_b64 vcc, exec, s[16:17]
	s_cbranch_vccz .LBB4_24
; %bb.18:
	s_andn2_b64 vcc, exec, s[14:15]
	s_cbranch_vccnz .LBB4_20
.LBB4_19:
	v_mov_b32_e32 v1, 0
	s_waitcnt vmcnt(0)
	global_store_dwordx2 v1, v[4:5], s[4:5]
.LBB4_20:
	s_or_b64 exec, exec, s[12:13]
	s_waitcnt lgkmcnt(0)
	s_barrier
	s_and_saveexec_b64 s[2:3], s[0:1]
	s_cbranch_execz .LBB4_23
; %bb.21:
	v_mov_b32_e32 v1, 0
	s_waitcnt vmcnt(0)
	ds_read_b64 v[4:5], v1
	s_lshl_b32 s2, s25, 10
	s_mov_b64 s[0:1], 0
.LBB4_22:                               ; =>This Inner Loop Header: Depth=1
	v_ashrrev_i32_e32 v3, 31, v2
	v_lshl_add_u64 v[6:7], v[2:3], 3, s[10:11]
	global_load_dwordx2 v[8:9], v[6:7], off
	v_add_u32_e32 v0, 0x400, v0
	v_cmp_le_i32_e32 vcc, s24, v0
	s_or_b64 s[0:1], vcc, s[0:1]
	v_add_u32_e32 v2, s2, v2
	s_waitcnt vmcnt(0) lgkmcnt(0)
	v_mul_f64 v[8:9], v[4:5], v[8:9]
	global_store_dwordx2 v[6:7], v[8:9], off
	s_andn2_b64 exec, exec, s[0:1]
	s_cbranch_execnz .LBB4_22
.LBB4_23:
	s_endpgm
.LBB4_24:
	v_mov_b32_e32 v1, 0
	s_waitcnt vmcnt(0)
	global_store_dwordx2 v1, v[4:5], s[20:21]
	v_mov_b64_e32 v[4:5], 1.0
	s_branch .LBB4_19
	.section	.rodata,"a",@progbits
	.p2align	6, 0x0
	.amdhsa_kernel _ZN9rocsolver6v33100L18larfg_kernel_smallILi1024EdidPdEEvT1_T3_llPT2_llS4_lS3_lPT0_l
		.amdhsa_group_segment_fixed_size 128
		.amdhsa_private_segment_fixed_size 0
		.amdhsa_kernarg_size 104
		.amdhsa_user_sgpr_count 2
		.amdhsa_user_sgpr_dispatch_ptr 0
		.amdhsa_user_sgpr_queue_ptr 0
		.amdhsa_user_sgpr_kernarg_segment_ptr 1
		.amdhsa_user_sgpr_dispatch_id 0
		.amdhsa_user_sgpr_kernarg_preload_length 0
		.amdhsa_user_sgpr_kernarg_preload_offset 0
		.amdhsa_user_sgpr_private_segment_size 0
		.amdhsa_uses_dynamic_stack 0
		.amdhsa_enable_private_segment 0
		.amdhsa_system_sgpr_workgroup_id_x 1
		.amdhsa_system_sgpr_workgroup_id_y 0
		.amdhsa_system_sgpr_workgroup_id_z 1
		.amdhsa_system_sgpr_workgroup_info 0
		.amdhsa_system_vgpr_workitem_id 0
		.amdhsa_next_free_vgpr 26
		.amdhsa_next_free_sgpr 26
		.amdhsa_accum_offset 28
		.amdhsa_reserve_vcc 1
		.amdhsa_float_round_mode_32 0
		.amdhsa_float_round_mode_16_64 0
		.amdhsa_float_denorm_mode_32 3
		.amdhsa_float_denorm_mode_16_64 3
		.amdhsa_dx10_clamp 1
		.amdhsa_ieee_mode 1
		.amdhsa_fp16_overflow 0
		.amdhsa_tg_split 0
		.amdhsa_exception_fp_ieee_invalid_op 0
		.amdhsa_exception_fp_denorm_src 0
		.amdhsa_exception_fp_ieee_div_zero 0
		.amdhsa_exception_fp_ieee_overflow 0
		.amdhsa_exception_fp_ieee_underflow 0
		.amdhsa_exception_fp_ieee_inexact 0
		.amdhsa_exception_int_div_zero 0
	.end_amdhsa_kernel
	.section	.text._ZN9rocsolver6v33100L18larfg_kernel_smallILi1024EdidPdEEvT1_T3_llPT2_llS4_lS3_lPT0_l,"axG",@progbits,_ZN9rocsolver6v33100L18larfg_kernel_smallILi1024EdidPdEEvT1_T3_llPT2_llS4_lS3_lPT0_l,comdat
.Lfunc_end4:
	.size	_ZN9rocsolver6v33100L18larfg_kernel_smallILi1024EdidPdEEvT1_T3_llPT2_llS4_lS3_lPT0_l, .Lfunc_end4-_ZN9rocsolver6v33100L18larfg_kernel_smallILi1024EdidPdEEvT1_T3_llPT2_llS4_lS3_lPT0_l
                                        ; -- End function
	.set _ZN9rocsolver6v33100L18larfg_kernel_smallILi1024EdidPdEEvT1_T3_llPT2_llS4_lS3_lPT0_l.num_vgpr, 26
	.set _ZN9rocsolver6v33100L18larfg_kernel_smallILi1024EdidPdEEvT1_T3_llPT2_llS4_lS3_lPT0_l.num_agpr, 0
	.set _ZN9rocsolver6v33100L18larfg_kernel_smallILi1024EdidPdEEvT1_T3_llPT2_llS4_lS3_lPT0_l.numbered_sgpr, 26
	.set _ZN9rocsolver6v33100L18larfg_kernel_smallILi1024EdidPdEEvT1_T3_llPT2_llS4_lS3_lPT0_l.num_named_barrier, 0
	.set _ZN9rocsolver6v33100L18larfg_kernel_smallILi1024EdidPdEEvT1_T3_llPT2_llS4_lS3_lPT0_l.private_seg_size, 0
	.set _ZN9rocsolver6v33100L18larfg_kernel_smallILi1024EdidPdEEvT1_T3_llPT2_llS4_lS3_lPT0_l.uses_vcc, 1
	.set _ZN9rocsolver6v33100L18larfg_kernel_smallILi1024EdidPdEEvT1_T3_llPT2_llS4_lS3_lPT0_l.uses_flat_scratch, 0
	.set _ZN9rocsolver6v33100L18larfg_kernel_smallILi1024EdidPdEEvT1_T3_llPT2_llS4_lS3_lPT0_l.has_dyn_sized_stack, 0
	.set _ZN9rocsolver6v33100L18larfg_kernel_smallILi1024EdidPdEEvT1_T3_llPT2_llS4_lS3_lPT0_l.has_recursion, 0
	.set _ZN9rocsolver6v33100L18larfg_kernel_smallILi1024EdidPdEEvT1_T3_llPT2_llS4_lS3_lPT0_l.has_indirect_call, 0
	.section	.AMDGPU.csdata,"",@progbits
; Kernel info:
; codeLenInByte = 1624
; TotalNumSgprs: 32
; NumVgprs: 26
; NumAgprs: 0
; TotalNumVgprs: 26
; ScratchSize: 0
; MemoryBound: 0
; FloatMode: 240
; IeeeMode: 1
; LDSByteSize: 128 bytes/workgroup (compile time only)
; SGPRBlocks: 3
; VGPRBlocks: 3
; NumSGPRsForWavesPerEU: 32
; NumVGPRsForWavesPerEU: 26
; AccumOffset: 28
; Occupancy: 8
; WaveLimiterHint : 1
; COMPUTE_PGM_RSRC2:SCRATCH_EN: 0
; COMPUTE_PGM_RSRC2:USER_SGPR: 2
; COMPUTE_PGM_RSRC2:TRAP_HANDLER: 0
; COMPUTE_PGM_RSRC2:TGID_X_EN: 1
; COMPUTE_PGM_RSRC2:TGID_Y_EN: 0
; COMPUTE_PGM_RSRC2:TGID_Z_EN: 1
; COMPUTE_PGM_RSRC2:TIDIG_COMP_CNT: 0
; COMPUTE_PGM_RSRC3_GFX90A:ACCUM_OFFSET: 6
; COMPUTE_PGM_RSRC3_GFX90A:TG_SPLIT: 0
	.section	.text._ZN9rocsolver6v33100L18larfg_kernel_smallILi64EdidPKPdEEvT1_T3_llPT2_llS6_lS5_lPT0_l,"axG",@progbits,_ZN9rocsolver6v33100L18larfg_kernel_smallILi64EdidPKPdEEvT1_T3_llPT2_llS6_lS5_lPT0_l,comdat
	.globl	_ZN9rocsolver6v33100L18larfg_kernel_smallILi64EdidPKPdEEvT1_T3_llPT2_llS6_lS5_lPT0_l ; -- Begin function _ZN9rocsolver6v33100L18larfg_kernel_smallILi64EdidPKPdEEvT1_T3_llPT2_llS6_lS5_lPT0_l
	.p2align	8
	.type	_ZN9rocsolver6v33100L18larfg_kernel_smallILi64EdidPKPdEEvT1_T3_llPT2_llS6_lS5_lPT0_l,@function
_ZN9rocsolver6v33100L18larfg_kernel_smallILi64EdidPKPdEEvT1_T3_llPT2_llS6_lS5_lPT0_l: ; @_ZN9rocsolver6v33100L18larfg_kernel_smallILi64EdidPKPdEEvT1_T3_llPT2_llS6_lS5_lPT0_l
; %bb.0:
	s_mov_b32 s16, s3
	s_load_dwordx4 s[12:15], s[0:1], 0x8
	s_load_dwordx8 s[4:11], s[0:1], 0x20
	s_load_dwordx2 s[2:3], s[0:1], 0x40
	s_ashr_i32 s17, s16, 31
	s_lshl_b64 s[18:19], s[16:17], 3
	s_waitcnt lgkmcnt(0)
	s_add_u32 s12, s12, s18
	s_addc_u32 s13, s13, s19
	s_add_u32 s10, s10, s18
	s_addc_u32 s11, s11, s19
	s_load_dwordx2 s[18:19], s[10:11], 0x0
	s_cmp_eq_u64 s[4:5], 0
	s_mov_b64 s[10:11], 0
	s_cbranch_scc1 .LBB5_2
; %bb.1:
	s_mul_i32 s10, s8, s17
	s_mul_hi_u32 s11, s8, s16
	s_add_i32 s10, s11, s10
	s_mul_i32 s9, s9, s16
	s_add_i32 s9, s10, s9
	s_mul_i32 s8, s8, s16
	s_lshl_b64 s[8:9], s[8:9], 3
	s_add_u32 s8, s4, s8
	s_addc_u32 s9, s5, s9
	s_lshl_b64 s[4:5], s[6:7], 3
	s_add_u32 s10, s8, s4
	s_addc_u32 s11, s9, s5
.LBB5_2:
	s_load_dwordx2 s[8:9], s[12:13], 0x0
	s_load_dword s22, s[0:1], 0x0
	s_load_dword s23, s[0:1], 0x48
	s_lshl_b64 s[2:3], s[2:3], 3
	s_waitcnt lgkmcnt(0)
	s_add_u32 s4, s18, s2
	s_addc_u32 s5, s19, s3
	s_add_i32 s22, s22, -1
	v_cmp_gt_i32_e64 s[2:3], s22, v0
	v_mov_b64_e32 v[4:5], 0
	v_mul_lo_u32 v2, v0, s23
	s_and_saveexec_b64 s[6:7], s[2:3]
	s_cbranch_execz .LBB5_6
; %bb.3:
	v_mul_lo_u32 v6, v0, s23
	s_lshl_b32 s18, s23, 6
	v_mov_b64_e32 v[4:5], 0
	s_mov_b64 s[12:13], 0
	v_mov_b32_e32 v1, v0
.LBB5_4:                                ; =>This Inner Loop Header: Depth=1
	v_ashrrev_i32_e32 v7, 31, v6
	v_lshl_add_u64 v[8:9], v[6:7], 3, s[4:5]
	flat_load_dwordx2 v[8:9], v[8:9]
	v_add_u32_e32 v1, 64, v1
	v_cmp_le_i32_e32 vcc, s22, v1
	s_or_b64 s[12:13], vcc, s[12:13]
	v_add_u32_e32 v6, s18, v6
	s_waitcnt vmcnt(0) lgkmcnt(0)
	v_fmac_f64_e32 v[4:5], v[8:9], v[8:9]
	s_andn2_b64 exec, exec, s[12:13]
	s_cbranch_execnz .LBB5_4
; %bb.5:
	s_or_b64 exec, exec, s[12:13]
.LBB5_6:
	s_or_b64 exec, exec, s[6:7]
	v_mbcnt_lo_u32_b32 v1, -1, 0
	v_mbcnt_hi_u32_b32 v1, -1, v1
	v_and_b32_e32 v3, 63, v1
	v_cmp_ne_u32_e32 vcc, 63, v3
	s_nop 1
	v_addc_co_u32_e32 v6, vcc, 0, v1, vcc
	v_lshlrev_b32_e32 v7, 2, v6
	ds_bpermute_b32 v6, v7, v4
	ds_bpermute_b32 v7, v7, v5
	v_cmp_gt_u32_e32 vcc, 62, v3
	s_waitcnt lgkmcnt(0)
	v_add_f64 v[4:5], v[4:5], v[6:7]
	v_cndmask_b32_e64 v6, 0, 2, vcc
	v_add_lshl_u32 v7, v6, v1, 2
	ds_bpermute_b32 v6, v7, v4
	ds_bpermute_b32 v7, v7, v5
	v_cmp_gt_u32_e32 vcc, 60, v3
	s_waitcnt lgkmcnt(0)
	v_add_f64 v[4:5], v[4:5], v[6:7]
	v_cndmask_b32_e64 v6, 0, 4, vcc
	v_add_lshl_u32 v7, v6, v1, 2
	;; [unrolled: 7-line block ×4, first 2 shown]
	ds_bpermute_b32 v6, v3, v4
	ds_bpermute_b32 v7, v3, v5
	v_mov_b32_e32 v3, 0x80
	v_lshl_or_b32 v1, v1, 2, v3
	v_cmp_eq_u32_e32 vcc, 0, v0
	s_waitcnt lgkmcnt(0)
	v_add_f64 v[4:5], v[4:5], v[6:7]
	ds_bpermute_b32 v6, v1, v4
	ds_bpermute_b32 v7, v1, v5
	s_waitcnt lgkmcnt(0)
	v_add_f64 v[4:5], v[4:5], v[6:7]
	s_and_saveexec_b64 s[6:7], vcc
; %bb.7:
	v_lshrrev_b32_e32 v1, 3, v0
	ds_write_b64 v1, v[4:5]
; %bb.8:
	s_or_b64 exec, exec, s[6:7]
	v_cmp_eq_u32_e32 vcc, 0, v0
	s_waitcnt lgkmcnt(0)
	; wave barrier
	s_and_saveexec_b64 s[6:7], vcc
; %bb.9:
	v_mov_b32_e32 v1, 0
	ds_write_b64 v1, v[4:5]
; %bb.10:
	s_or_b64 exec, exec, s[6:7]
	s_waitcnt lgkmcnt(0)
	; wave barrier
	s_and_saveexec_b64 s[6:7], vcc
	s_cbranch_execz .LBB5_17
; %bb.11:
	s_load_dwordx4 s[24:27], s[0:1], 0x58
	s_lshl_b64 s[0:1], s[14:15], 3
	s_add_u32 s0, s8, s0
	s_addc_u32 s1, s9, s1
	v_mov_b32_e32 v4, 0
	s_waitcnt lgkmcnt(0)
	s_mul_i32 s8, s26, s17
	s_mul_hi_u32 s9, s26, s16
	s_add_i32 s8, s9, s8
	s_mul_i32 s9, s27, s16
	s_add_i32 s9, s8, s9
	s_mul_i32 s8, s26, s16
	ds_read_b64 v[6:7], v4
	s_lshl_b64 s[8:9], s[8:9], 3
	s_add_u32 s8, s24, s8
	s_addc_u32 s9, s25, s9
	s_cmp_eq_u64 s[10:11], 0
	s_cselect_b64 s[14:15], -1, 0
	s_cmp_lg_u64 s[10:11], 0
	s_waitcnt lgkmcnt(0)
	v_cmp_nlt_f64_e32 vcc, 0, v[6:7]
	s_mov_b64 s[16:17], 0
	s_cselect_b64 s[12:13], -1, 0
	s_cbranch_vccz .LBB5_21
; %bb.12:
	v_mov_b32_e32 v5, 0x3ff00000
	ds_write_b64 v4, v[4:5]
	v_mov_b32_e32 v5, v4
	s_mov_b64 s[20:21], 0
	s_and_b64 vcc, exec, s[12:13]
	s_mov_b64 s[18:19], 0
	global_store_dwordx2 v4, v[4:5], s[8:9]
                                        ; implicit-def: $vgpr4_vgpr5
	s_cbranch_vccnz .LBB5_22
; %bb.13:
	s_and_b64 vcc, exec, s[20:21]
	s_cbranch_vccnz .LBB5_23
.LBB5_14:
	s_andn2_b64 vcc, exec, s[18:19]
	s_cbranch_vccz .LBB5_24
.LBB5_15:
	s_andn2_b64 vcc, exec, s[16:17]
	s_cbranch_vccnz .LBB5_17
.LBB5_16:
	v_mov_b64_e32 v[6:7], s[0:1]
	s_waitcnt vmcnt(0) lgkmcnt(0)
	flat_store_dwordx2 v[6:7], v[4:5]
.LBB5_17:
	s_or_b64 exec, exec, s[6:7]
	s_waitcnt lgkmcnt(0)
	; wave barrier
	s_and_saveexec_b64 s[0:1], s[2:3]
	s_cbranch_execz .LBB5_20
; %bb.18:
	v_mov_b32_e32 v1, 0
	s_waitcnt vmcnt(0)
	ds_read_b64 v[4:5], v1
	s_lshl_b32 s2, s23, 6
	s_mov_b64 s[0:1], 0
.LBB5_19:                               ; =>This Inner Loop Header: Depth=1
	v_ashrrev_i32_e32 v3, 31, v2
	v_lshl_add_u64 v[6:7], v[2:3], 3, s[4:5]
	flat_load_dwordx2 v[8:9], v[6:7]
	v_add_u32_e32 v0, 64, v0
	v_cmp_le_i32_e32 vcc, s22, v0
	s_or_b64 s[0:1], vcc, s[0:1]
	v_add_u32_e32 v2, s2, v2
	s_waitcnt vmcnt(0) lgkmcnt(0)
	v_mul_f64 v[8:9], v[4:5], v[8:9]
	flat_store_dwordx2 v[6:7], v[8:9]
	s_andn2_b64 exec, exec, s[0:1]
	s_cbranch_execnz .LBB5_19
.LBB5_20:
	s_endpgm
.LBB5_21:
                                        ; implicit-def: $vgpr4_vgpr5
	s_mov_b64 s[18:19], 0
	s_cbranch_execz .LBB5_14
	s_branch .LBB5_23
.LBB5_22:
	v_mov_b64_e32 v[4:5], s[0:1]
	flat_load_dwordx2 v[4:5], v[4:5]
	s_mov_b64 s[18:19], -1
	s_and_b64 vcc, exec, s[20:21]
	s_cbranch_vccz .LBB5_14
.LBB5_23:
	v_mov_b64_e32 v[8:9], s[0:1]
	flat_load_dwordx2 v[10:11], v[8:9]
	s_mov_b32 s16, 0
	s_brev_b32 s17, 8
	v_mov_b32_e32 v1, 0x100
	v_mov_b32_e32 v3, 0x260
	s_mov_b64 s[18:19], s[12:13]
	s_waitcnt vmcnt(0) lgkmcnt(0)
	v_fmac_f64_e32 v[6:7], v[10:11], v[10:11]
	v_cmp_gt_f64_e32 vcc, s[16:17], v[6:7]
	s_nop 1
	v_cndmask_b32_e32 v1, 0, v1, vcc
	v_ldexp_f64 v[4:5], v[6:7], v1
	v_rsq_f64_e32 v[6:7], v[4:5]
	v_mov_b32_e32 v1, 0xffffff80
	v_cndmask_b32_e32 v1, 0, v1, vcc
	v_cmp_class_f64_e32 vcc, v[4:5], v3
	v_mul_f64 v[12:13], v[4:5], v[6:7]
	v_mul_f64 v[6:7], v[6:7], 0.5
	v_fma_f64 v[14:15], -v[6:7], v[12:13], 0.5
	v_fmac_f64_e32 v[12:13], v[12:13], v[14:15]
	v_fmac_f64_e32 v[6:7], v[6:7], v[14:15]
	v_fma_f64 v[14:15], -v[12:13], v[12:13], v[4:5]
	v_fmac_f64_e32 v[12:13], v[14:15], v[6:7]
	v_fma_f64 v[14:15], -v[12:13], v[12:13], v[4:5]
	v_fmac_f64_e32 v[12:13], v[14:15], v[6:7]
	v_ldexp_f64 v[6:7], v[12:13], v1
	v_cndmask_b32_e32 v1, v7, v5, vcc
	v_cndmask_b32_e32 v4, v6, v4, vcc
	v_xor_b32_e32 v3, 0x80000000, v1
	v_cmp_le_f64_e32 vcc, 0, v[10:11]
	s_nop 1
	v_cndmask_b32_e32 v5, v1, v3, vcc
	v_add_f64 v[6:7], v[10:11], -v[4:5]
	v_div_scale_f64 v[10:11], s[16:17], v[6:7], v[6:7], 1.0
	v_rcp_f64_e32 v[12:13], v[10:11]
	v_div_scale_f64 v[14:15], vcc, 1.0, v[6:7], 1.0
	v_mov_b32_e32 v1, 0
	v_fma_f64 v[16:17], -v[10:11], v[12:13], 1.0
	v_fmac_f64_e32 v[12:13], v[12:13], v[16:17]
	v_fma_f64 v[16:17], -v[10:11], v[12:13], 1.0
	v_fmac_f64_e32 v[12:13], v[12:13], v[16:17]
	v_mul_f64 v[16:17], v[14:15], v[12:13]
	v_fma_f64 v[10:11], -v[10:11], v[16:17], v[14:15]
	v_div_fmas_f64 v[10:11], v[10:11], v[12:13], v[16:17]
	v_div_fixup_f64 v[6:7], v[10:11], v[6:7], 1.0
	ds_write_b64 v1, v[6:7]
	flat_load_dwordx2 v[6:7], v[8:9]
	s_waitcnt vmcnt(0) lgkmcnt(0)
	v_add_f64 v[6:7], v[4:5], -v[6:7]
	v_div_scale_f64 v[8:9], s[16:17], v[4:5], v[4:5], v[6:7]
	v_rcp_f64_e32 v[10:11], v[8:9]
	v_div_scale_f64 v[12:13], vcc, v[6:7], v[4:5], v[6:7]
	s_mov_b64 s[16:17], s[14:15]
	v_fma_f64 v[14:15], -v[8:9], v[10:11], 1.0
	v_fmac_f64_e32 v[10:11], v[10:11], v[14:15]
	v_fma_f64 v[14:15], -v[8:9], v[10:11], 1.0
	v_fmac_f64_e32 v[10:11], v[10:11], v[14:15]
	v_mul_f64 v[14:15], v[12:13], v[10:11]
	v_fma_f64 v[8:9], -v[8:9], v[14:15], v[12:13]
	v_div_fmas_f64 v[8:9], v[8:9], v[10:11], v[14:15]
	v_div_fixup_f64 v[6:7], v[8:9], v[4:5], v[6:7]
	global_store_dwordx2 v1, v[6:7], s[8:9]
	s_andn2_b64 vcc, exec, s[18:19]
	s_cbranch_vccnz .LBB5_15
.LBB5_24:
	v_mov_b32_e32 v1, 0
	s_waitcnt vmcnt(0) lgkmcnt(0)
	global_store_dwordx2 v1, v[4:5], s[10:11]
	v_mov_b64_e32 v[4:5], 1.0
	s_branch .LBB5_16
	.section	.rodata,"a",@progbits
	.p2align	6, 0x0
	.amdhsa_kernel _ZN9rocsolver6v33100L18larfg_kernel_smallILi64EdidPKPdEEvT1_T3_llPT2_llS6_lS5_lPT0_l
		.amdhsa_group_segment_fixed_size 8
		.amdhsa_private_segment_fixed_size 0
		.amdhsa_kernarg_size 104
		.amdhsa_user_sgpr_count 2
		.amdhsa_user_sgpr_dispatch_ptr 0
		.amdhsa_user_sgpr_queue_ptr 0
		.amdhsa_user_sgpr_kernarg_segment_ptr 1
		.amdhsa_user_sgpr_dispatch_id 0
		.amdhsa_user_sgpr_kernarg_preload_length 0
		.amdhsa_user_sgpr_kernarg_preload_offset 0
		.amdhsa_user_sgpr_private_segment_size 0
		.amdhsa_uses_dynamic_stack 0
		.amdhsa_enable_private_segment 0
		.amdhsa_system_sgpr_workgroup_id_x 1
		.amdhsa_system_sgpr_workgroup_id_y 0
		.amdhsa_system_sgpr_workgroup_id_z 1
		.amdhsa_system_sgpr_workgroup_info 0
		.amdhsa_system_vgpr_workitem_id 0
		.amdhsa_next_free_vgpr 18
		.amdhsa_next_free_sgpr 28
		.amdhsa_accum_offset 20
		.amdhsa_reserve_vcc 1
		.amdhsa_float_round_mode_32 0
		.amdhsa_float_round_mode_16_64 0
		.amdhsa_float_denorm_mode_32 3
		.amdhsa_float_denorm_mode_16_64 3
		.amdhsa_dx10_clamp 1
		.amdhsa_ieee_mode 1
		.amdhsa_fp16_overflow 0
		.amdhsa_tg_split 0
		.amdhsa_exception_fp_ieee_invalid_op 0
		.amdhsa_exception_fp_denorm_src 0
		.amdhsa_exception_fp_ieee_div_zero 0
		.amdhsa_exception_fp_ieee_overflow 0
		.amdhsa_exception_fp_ieee_underflow 0
		.amdhsa_exception_fp_ieee_inexact 0
		.amdhsa_exception_int_div_zero 0
	.end_amdhsa_kernel
	.section	.text._ZN9rocsolver6v33100L18larfg_kernel_smallILi64EdidPKPdEEvT1_T3_llPT2_llS6_lS5_lPT0_l,"axG",@progbits,_ZN9rocsolver6v33100L18larfg_kernel_smallILi64EdidPKPdEEvT1_T3_llPT2_llS6_lS5_lPT0_l,comdat
.Lfunc_end5:
	.size	_ZN9rocsolver6v33100L18larfg_kernel_smallILi64EdidPKPdEEvT1_T3_llPT2_llS6_lS5_lPT0_l, .Lfunc_end5-_ZN9rocsolver6v33100L18larfg_kernel_smallILi64EdidPKPdEEvT1_T3_llPT2_llS6_lS5_lPT0_l
                                        ; -- End function
	.set _ZN9rocsolver6v33100L18larfg_kernel_smallILi64EdidPKPdEEvT1_T3_llPT2_llS6_lS5_lPT0_l.num_vgpr, 18
	.set _ZN9rocsolver6v33100L18larfg_kernel_smallILi64EdidPKPdEEvT1_T3_llPT2_llS6_lS5_lPT0_l.num_agpr, 0
	.set _ZN9rocsolver6v33100L18larfg_kernel_smallILi64EdidPKPdEEvT1_T3_llPT2_llS6_lS5_lPT0_l.numbered_sgpr, 28
	.set _ZN9rocsolver6v33100L18larfg_kernel_smallILi64EdidPKPdEEvT1_T3_llPT2_llS6_lS5_lPT0_l.num_named_barrier, 0
	.set _ZN9rocsolver6v33100L18larfg_kernel_smallILi64EdidPKPdEEvT1_T3_llPT2_llS6_lS5_lPT0_l.private_seg_size, 0
	.set _ZN9rocsolver6v33100L18larfg_kernel_smallILi64EdidPKPdEEvT1_T3_llPT2_llS6_lS5_lPT0_l.uses_vcc, 1
	.set _ZN9rocsolver6v33100L18larfg_kernel_smallILi64EdidPKPdEEvT1_T3_llPT2_llS6_lS5_lPT0_l.uses_flat_scratch, 0
	.set _ZN9rocsolver6v33100L18larfg_kernel_smallILi64EdidPKPdEEvT1_T3_llPT2_llS6_lS5_lPT0_l.has_dyn_sized_stack, 0
	.set _ZN9rocsolver6v33100L18larfg_kernel_smallILi64EdidPKPdEEvT1_T3_llPT2_llS6_lS5_lPT0_l.has_recursion, 0
	.set _ZN9rocsolver6v33100L18larfg_kernel_smallILi64EdidPKPdEEvT1_T3_llPT2_llS6_lS5_lPT0_l.has_indirect_call, 0
	.section	.AMDGPU.csdata,"",@progbits
; Kernel info:
; codeLenInByte = 1392
; TotalNumSgprs: 34
; NumVgprs: 18
; NumAgprs: 0
; TotalNumVgprs: 18
; ScratchSize: 0
; MemoryBound: 0
; FloatMode: 240
; IeeeMode: 1
; LDSByteSize: 8 bytes/workgroup (compile time only)
; SGPRBlocks: 4
; VGPRBlocks: 2
; NumSGPRsForWavesPerEU: 34
; NumVGPRsForWavesPerEU: 18
; AccumOffset: 20
; Occupancy: 8
; WaveLimiterHint : 1
; COMPUTE_PGM_RSRC2:SCRATCH_EN: 0
; COMPUTE_PGM_RSRC2:USER_SGPR: 2
; COMPUTE_PGM_RSRC2:TRAP_HANDLER: 0
; COMPUTE_PGM_RSRC2:TGID_X_EN: 1
; COMPUTE_PGM_RSRC2:TGID_Y_EN: 0
; COMPUTE_PGM_RSRC2:TGID_Z_EN: 1
; COMPUTE_PGM_RSRC2:TIDIG_COMP_CNT: 0
; COMPUTE_PGM_RSRC3_GFX90A:ACCUM_OFFSET: 4
; COMPUTE_PGM_RSRC3_GFX90A:TG_SPLIT: 0
	.section	.text._ZN9rocsolver6v33100L18larfg_kernel_smallILi128EdidPKPdEEvT1_T3_llPT2_llS6_lS5_lPT0_l,"axG",@progbits,_ZN9rocsolver6v33100L18larfg_kernel_smallILi128EdidPKPdEEvT1_T3_llPT2_llS6_lS5_lPT0_l,comdat
	.globl	_ZN9rocsolver6v33100L18larfg_kernel_smallILi128EdidPKPdEEvT1_T3_llPT2_llS6_lS5_lPT0_l ; -- Begin function _ZN9rocsolver6v33100L18larfg_kernel_smallILi128EdidPKPdEEvT1_T3_llPT2_llS6_lS5_lPT0_l
	.p2align	8
	.type	_ZN9rocsolver6v33100L18larfg_kernel_smallILi128EdidPKPdEEvT1_T3_llPT2_llS6_lS5_lPT0_l,@function
_ZN9rocsolver6v33100L18larfg_kernel_smallILi128EdidPKPdEEvT1_T3_llPT2_llS6_lS5_lPT0_l: ; @_ZN9rocsolver6v33100L18larfg_kernel_smallILi128EdidPKPdEEvT1_T3_llPT2_llS6_lS5_lPT0_l
; %bb.0:
	s_mov_b32 s16, s3
	s_load_dwordx4 s[12:15], s[0:1], 0x8
	s_load_dwordx8 s[4:11], s[0:1], 0x20
	s_load_dwordx2 s[2:3], s[0:1], 0x40
	s_ashr_i32 s17, s16, 31
	s_lshl_b64 s[18:19], s[16:17], 3
	s_waitcnt lgkmcnt(0)
	s_add_u32 s12, s12, s18
	s_addc_u32 s13, s13, s19
	s_add_u32 s10, s10, s18
	s_addc_u32 s11, s11, s19
	s_load_dwordx2 s[18:19], s[10:11], 0x0
	s_cmp_eq_u64 s[4:5], 0
	s_mov_b64 s[10:11], 0
	s_cbranch_scc1 .LBB6_2
; %bb.1:
	s_mul_i32 s10, s8, s17
	s_mul_hi_u32 s11, s8, s16
	s_add_i32 s10, s11, s10
	s_mul_i32 s9, s9, s16
	s_add_i32 s9, s10, s9
	s_mul_i32 s8, s8, s16
	s_lshl_b64 s[8:9], s[8:9], 3
	s_add_u32 s8, s4, s8
	s_addc_u32 s9, s5, s9
	s_lshl_b64 s[4:5], s[6:7], 3
	s_add_u32 s10, s8, s4
	s_addc_u32 s11, s9, s5
.LBB6_2:
	s_load_dwordx2 s[8:9], s[12:13], 0x0
	s_load_dword s22, s[0:1], 0x0
	s_load_dword s23, s[0:1], 0x48
	s_lshl_b64 s[2:3], s[2:3], 3
	s_waitcnt lgkmcnt(0)
	s_add_u32 s4, s18, s2
	s_addc_u32 s5, s19, s3
	s_add_i32 s22, s22, -1
	v_cmp_gt_i32_e64 s[2:3], s22, v0
	v_mov_b64_e32 v[4:5], 0
	v_mul_lo_u32 v2, v0, s23
	s_and_saveexec_b64 s[6:7], s[2:3]
	s_cbranch_execz .LBB6_6
; %bb.3:
	v_mul_lo_u32 v6, v0, s23
	s_lshl_b32 s18, s23, 7
	v_mov_b64_e32 v[4:5], 0
	s_mov_b64 s[12:13], 0
	v_mov_b32_e32 v1, v0
.LBB6_4:                                ; =>This Inner Loop Header: Depth=1
	v_ashrrev_i32_e32 v7, 31, v6
	v_lshl_add_u64 v[8:9], v[6:7], 3, s[4:5]
	flat_load_dwordx2 v[8:9], v[8:9]
	v_add_u32_e32 v1, 0x80, v1
	v_cmp_le_i32_e32 vcc, s22, v1
	s_or_b64 s[12:13], vcc, s[12:13]
	v_add_u32_e32 v6, s18, v6
	s_waitcnt vmcnt(0) lgkmcnt(0)
	v_fmac_f64_e32 v[4:5], v[8:9], v[8:9]
	s_andn2_b64 exec, exec, s[12:13]
	s_cbranch_execnz .LBB6_4
; %bb.5:
	s_or_b64 exec, exec, s[12:13]
.LBB6_6:
	s_or_b64 exec, exec, s[6:7]
	v_mbcnt_lo_u32_b32 v1, -1, 0
	v_mbcnt_hi_u32_b32 v1, -1, v1
	v_and_b32_e32 v3, 63, v1
	v_cmp_ne_u32_e32 vcc, 63, v3
	s_nop 1
	v_addc_co_u32_e32 v6, vcc, 0, v1, vcc
	v_lshlrev_b32_e32 v7, 2, v6
	ds_bpermute_b32 v6, v7, v4
	ds_bpermute_b32 v7, v7, v5
	v_cmp_gt_u32_e32 vcc, 62, v3
	s_waitcnt lgkmcnt(0)
	v_add_f64 v[4:5], v[4:5], v[6:7]
	v_cndmask_b32_e64 v6, 0, 2, vcc
	v_add_lshl_u32 v7, v6, v1, 2
	ds_bpermute_b32 v6, v7, v4
	ds_bpermute_b32 v7, v7, v5
	v_cmp_gt_u32_e32 vcc, 60, v3
	s_waitcnt lgkmcnt(0)
	v_add_f64 v[4:5], v[4:5], v[6:7]
	v_cndmask_b32_e64 v6, 0, 4, vcc
	v_add_lshl_u32 v7, v6, v1, 2
	;; [unrolled: 7-line block ×4, first 2 shown]
	ds_bpermute_b32 v6, v3, v4
	ds_bpermute_b32 v7, v3, v5
	v_mov_b32_e32 v3, 0x80
	v_lshl_or_b32 v1, v1, 2, v3
	s_waitcnt lgkmcnt(0)
	v_add_f64 v[4:5], v[4:5], v[6:7]
	ds_bpermute_b32 v6, v1, v4
	ds_bpermute_b32 v7, v1, v5
	v_and_b32_e32 v1, 63, v0
	v_cmp_eq_u32_e32 vcc, 0, v1
	s_waitcnt lgkmcnt(0)
	v_add_f64 v[4:5], v[4:5], v[6:7]
	s_and_saveexec_b64 s[6:7], vcc
; %bb.7:
	v_lshrrev_b32_e32 v1, 3, v0
	ds_write_b64 v1, v[4:5]
; %bb.8:
	s_or_b64 exec, exec, s[6:7]
	v_cmp_eq_u32_e32 vcc, 0, v0
	s_waitcnt lgkmcnt(0)
	s_barrier
	s_and_saveexec_b64 s[6:7], vcc
	s_cbranch_execz .LBB6_10
; %bb.9:
	v_mov_b32_e32 v1, 0
	ds_read_b64 v[6:7], v1 offset:8
	s_waitcnt lgkmcnt(0)
	v_add_f64 v[4:5], v[4:5], v[6:7]
	ds_write_b64 v1, v[4:5]
.LBB6_10:
	s_or_b64 exec, exec, s[6:7]
	s_waitcnt lgkmcnt(0)
	s_barrier
	s_and_saveexec_b64 s[6:7], vcc
	s_cbranch_execz .LBB6_17
; %bb.11:
	s_load_dwordx4 s[24:27], s[0:1], 0x58
	s_lshl_b64 s[0:1], s[14:15], 3
	s_add_u32 s0, s8, s0
	s_addc_u32 s1, s9, s1
	v_mov_b32_e32 v4, 0
	s_waitcnt lgkmcnt(0)
	s_mul_i32 s8, s26, s17
	s_mul_hi_u32 s9, s26, s16
	s_add_i32 s8, s9, s8
	s_mul_i32 s9, s27, s16
	s_add_i32 s9, s8, s9
	s_mul_i32 s8, s26, s16
	ds_read_b64 v[6:7], v4
	s_lshl_b64 s[8:9], s[8:9], 3
	s_add_u32 s8, s24, s8
	s_addc_u32 s9, s25, s9
	s_cmp_eq_u64 s[10:11], 0
	s_cselect_b64 s[14:15], -1, 0
	s_cmp_lg_u64 s[10:11], 0
	s_waitcnt lgkmcnt(0)
	v_cmp_nlt_f64_e32 vcc, 0, v[6:7]
	s_mov_b64 s[16:17], 0
	s_cselect_b64 s[12:13], -1, 0
	s_cbranch_vccz .LBB6_21
; %bb.12:
	v_mov_b32_e32 v5, 0x3ff00000
	ds_write_b64 v4, v[4:5]
	v_mov_b32_e32 v5, v4
	s_mov_b64 s[20:21], 0
	s_and_b64 vcc, exec, s[12:13]
	s_mov_b64 s[18:19], 0
	global_store_dwordx2 v4, v[4:5], s[8:9]
                                        ; implicit-def: $vgpr4_vgpr5
	s_cbranch_vccnz .LBB6_22
; %bb.13:
	s_and_b64 vcc, exec, s[20:21]
	s_cbranch_vccnz .LBB6_23
.LBB6_14:
	s_andn2_b64 vcc, exec, s[18:19]
	s_cbranch_vccz .LBB6_24
.LBB6_15:
	s_andn2_b64 vcc, exec, s[16:17]
	s_cbranch_vccnz .LBB6_17
.LBB6_16:
	v_mov_b64_e32 v[6:7], s[0:1]
	s_waitcnt vmcnt(0) lgkmcnt(0)
	flat_store_dwordx2 v[6:7], v[4:5]
.LBB6_17:
	s_or_b64 exec, exec, s[6:7]
	s_waitcnt lgkmcnt(0)
	s_barrier
	s_and_saveexec_b64 s[0:1], s[2:3]
	s_cbranch_execz .LBB6_20
; %bb.18:
	v_mov_b32_e32 v1, 0
	s_waitcnt vmcnt(0)
	ds_read_b64 v[4:5], v1
	s_lshl_b32 s2, s23, 7
	s_mov_b64 s[0:1], 0
.LBB6_19:                               ; =>This Inner Loop Header: Depth=1
	v_ashrrev_i32_e32 v3, 31, v2
	v_lshl_add_u64 v[6:7], v[2:3], 3, s[4:5]
	flat_load_dwordx2 v[8:9], v[6:7]
	v_add_u32_e32 v0, 0x80, v0
	v_cmp_le_i32_e32 vcc, s22, v0
	s_or_b64 s[0:1], vcc, s[0:1]
	v_add_u32_e32 v2, s2, v2
	s_waitcnt vmcnt(0) lgkmcnt(0)
	v_mul_f64 v[8:9], v[4:5], v[8:9]
	flat_store_dwordx2 v[6:7], v[8:9]
	s_andn2_b64 exec, exec, s[0:1]
	s_cbranch_execnz .LBB6_19
.LBB6_20:
	s_endpgm
.LBB6_21:
                                        ; implicit-def: $vgpr4_vgpr5
	s_mov_b64 s[18:19], 0
	s_cbranch_execz .LBB6_14
	s_branch .LBB6_23
.LBB6_22:
	v_mov_b64_e32 v[4:5], s[0:1]
	flat_load_dwordx2 v[4:5], v[4:5]
	s_mov_b64 s[18:19], -1
	s_and_b64 vcc, exec, s[20:21]
	s_cbranch_vccz .LBB6_14
.LBB6_23:
	v_mov_b64_e32 v[8:9], s[0:1]
	flat_load_dwordx2 v[10:11], v[8:9]
	s_mov_b32 s16, 0
	s_brev_b32 s17, 8
	v_mov_b32_e32 v1, 0x100
	v_mov_b32_e32 v3, 0x260
	s_mov_b64 s[18:19], s[12:13]
	s_waitcnt vmcnt(0) lgkmcnt(0)
	v_fmac_f64_e32 v[6:7], v[10:11], v[10:11]
	v_cmp_gt_f64_e32 vcc, s[16:17], v[6:7]
	s_nop 1
	v_cndmask_b32_e32 v1, 0, v1, vcc
	v_ldexp_f64 v[4:5], v[6:7], v1
	v_rsq_f64_e32 v[6:7], v[4:5]
	v_mov_b32_e32 v1, 0xffffff80
	v_cndmask_b32_e32 v1, 0, v1, vcc
	v_cmp_class_f64_e32 vcc, v[4:5], v3
	v_mul_f64 v[12:13], v[4:5], v[6:7]
	v_mul_f64 v[6:7], v[6:7], 0.5
	v_fma_f64 v[14:15], -v[6:7], v[12:13], 0.5
	v_fmac_f64_e32 v[12:13], v[12:13], v[14:15]
	v_fmac_f64_e32 v[6:7], v[6:7], v[14:15]
	v_fma_f64 v[14:15], -v[12:13], v[12:13], v[4:5]
	v_fmac_f64_e32 v[12:13], v[14:15], v[6:7]
	v_fma_f64 v[14:15], -v[12:13], v[12:13], v[4:5]
	v_fmac_f64_e32 v[12:13], v[14:15], v[6:7]
	v_ldexp_f64 v[6:7], v[12:13], v1
	v_cndmask_b32_e32 v1, v7, v5, vcc
	v_cndmask_b32_e32 v4, v6, v4, vcc
	v_xor_b32_e32 v3, 0x80000000, v1
	v_cmp_le_f64_e32 vcc, 0, v[10:11]
	s_nop 1
	v_cndmask_b32_e32 v5, v1, v3, vcc
	v_add_f64 v[6:7], v[10:11], -v[4:5]
	v_div_scale_f64 v[10:11], s[16:17], v[6:7], v[6:7], 1.0
	v_rcp_f64_e32 v[12:13], v[10:11]
	v_div_scale_f64 v[14:15], vcc, 1.0, v[6:7], 1.0
	v_mov_b32_e32 v1, 0
	v_fma_f64 v[16:17], -v[10:11], v[12:13], 1.0
	v_fmac_f64_e32 v[12:13], v[12:13], v[16:17]
	v_fma_f64 v[16:17], -v[10:11], v[12:13], 1.0
	v_fmac_f64_e32 v[12:13], v[12:13], v[16:17]
	v_mul_f64 v[16:17], v[14:15], v[12:13]
	v_fma_f64 v[10:11], -v[10:11], v[16:17], v[14:15]
	v_div_fmas_f64 v[10:11], v[10:11], v[12:13], v[16:17]
	v_div_fixup_f64 v[6:7], v[10:11], v[6:7], 1.0
	ds_write_b64 v1, v[6:7]
	flat_load_dwordx2 v[6:7], v[8:9]
	s_waitcnt vmcnt(0) lgkmcnt(0)
	v_add_f64 v[6:7], v[4:5], -v[6:7]
	v_div_scale_f64 v[8:9], s[16:17], v[4:5], v[4:5], v[6:7]
	v_rcp_f64_e32 v[10:11], v[8:9]
	v_div_scale_f64 v[12:13], vcc, v[6:7], v[4:5], v[6:7]
	s_mov_b64 s[16:17], s[14:15]
	v_fma_f64 v[14:15], -v[8:9], v[10:11], 1.0
	v_fmac_f64_e32 v[10:11], v[10:11], v[14:15]
	v_fma_f64 v[14:15], -v[8:9], v[10:11], 1.0
	v_fmac_f64_e32 v[10:11], v[10:11], v[14:15]
	v_mul_f64 v[14:15], v[12:13], v[10:11]
	v_fma_f64 v[8:9], -v[8:9], v[14:15], v[12:13]
	v_div_fmas_f64 v[8:9], v[8:9], v[10:11], v[14:15]
	v_div_fixup_f64 v[6:7], v[8:9], v[4:5], v[6:7]
	global_store_dwordx2 v1, v[6:7], s[8:9]
	s_andn2_b64 vcc, exec, s[18:19]
	s_cbranch_vccnz .LBB6_15
.LBB6_24:
	v_mov_b32_e32 v1, 0
	s_waitcnt vmcnt(0) lgkmcnt(0)
	global_store_dwordx2 v1, v[4:5], s[10:11]
	v_mov_b64_e32 v[4:5], 1.0
	s_branch .LBB6_16
	.section	.rodata,"a",@progbits
	.p2align	6, 0x0
	.amdhsa_kernel _ZN9rocsolver6v33100L18larfg_kernel_smallILi128EdidPKPdEEvT1_T3_llPT2_llS6_lS5_lPT0_l
		.amdhsa_group_segment_fixed_size 16
		.amdhsa_private_segment_fixed_size 0
		.amdhsa_kernarg_size 104
		.amdhsa_user_sgpr_count 2
		.amdhsa_user_sgpr_dispatch_ptr 0
		.amdhsa_user_sgpr_queue_ptr 0
		.amdhsa_user_sgpr_kernarg_segment_ptr 1
		.amdhsa_user_sgpr_dispatch_id 0
		.amdhsa_user_sgpr_kernarg_preload_length 0
		.amdhsa_user_sgpr_kernarg_preload_offset 0
		.amdhsa_user_sgpr_private_segment_size 0
		.amdhsa_uses_dynamic_stack 0
		.amdhsa_enable_private_segment 0
		.amdhsa_system_sgpr_workgroup_id_x 1
		.amdhsa_system_sgpr_workgroup_id_y 0
		.amdhsa_system_sgpr_workgroup_id_z 1
		.amdhsa_system_sgpr_workgroup_info 0
		.amdhsa_system_vgpr_workitem_id 0
		.amdhsa_next_free_vgpr 18
		.amdhsa_next_free_sgpr 28
		.amdhsa_accum_offset 20
		.amdhsa_reserve_vcc 1
		.amdhsa_float_round_mode_32 0
		.amdhsa_float_round_mode_16_64 0
		.amdhsa_float_denorm_mode_32 3
		.amdhsa_float_denorm_mode_16_64 3
		.amdhsa_dx10_clamp 1
		.amdhsa_ieee_mode 1
		.amdhsa_fp16_overflow 0
		.amdhsa_tg_split 0
		.amdhsa_exception_fp_ieee_invalid_op 0
		.amdhsa_exception_fp_denorm_src 0
		.amdhsa_exception_fp_ieee_div_zero 0
		.amdhsa_exception_fp_ieee_overflow 0
		.amdhsa_exception_fp_ieee_underflow 0
		.amdhsa_exception_fp_ieee_inexact 0
		.amdhsa_exception_int_div_zero 0
	.end_amdhsa_kernel
	.section	.text._ZN9rocsolver6v33100L18larfg_kernel_smallILi128EdidPKPdEEvT1_T3_llPT2_llS6_lS5_lPT0_l,"axG",@progbits,_ZN9rocsolver6v33100L18larfg_kernel_smallILi128EdidPKPdEEvT1_T3_llPT2_llS6_lS5_lPT0_l,comdat
.Lfunc_end6:
	.size	_ZN9rocsolver6v33100L18larfg_kernel_smallILi128EdidPKPdEEvT1_T3_llPT2_llS6_lS5_lPT0_l, .Lfunc_end6-_ZN9rocsolver6v33100L18larfg_kernel_smallILi128EdidPKPdEEvT1_T3_llPT2_llS6_lS5_lPT0_l
                                        ; -- End function
	.set _ZN9rocsolver6v33100L18larfg_kernel_smallILi128EdidPKPdEEvT1_T3_llPT2_llS6_lS5_lPT0_l.num_vgpr, 18
	.set _ZN9rocsolver6v33100L18larfg_kernel_smallILi128EdidPKPdEEvT1_T3_llPT2_llS6_lS5_lPT0_l.num_agpr, 0
	.set _ZN9rocsolver6v33100L18larfg_kernel_smallILi128EdidPKPdEEvT1_T3_llPT2_llS6_lS5_lPT0_l.numbered_sgpr, 28
	.set _ZN9rocsolver6v33100L18larfg_kernel_smallILi128EdidPKPdEEvT1_T3_llPT2_llS6_lS5_lPT0_l.num_named_barrier, 0
	.set _ZN9rocsolver6v33100L18larfg_kernel_smallILi128EdidPKPdEEvT1_T3_llPT2_llS6_lS5_lPT0_l.private_seg_size, 0
	.set _ZN9rocsolver6v33100L18larfg_kernel_smallILi128EdidPKPdEEvT1_T3_llPT2_llS6_lS5_lPT0_l.uses_vcc, 1
	.set _ZN9rocsolver6v33100L18larfg_kernel_smallILi128EdidPKPdEEvT1_T3_llPT2_llS6_lS5_lPT0_l.uses_flat_scratch, 0
	.set _ZN9rocsolver6v33100L18larfg_kernel_smallILi128EdidPKPdEEvT1_T3_llPT2_llS6_lS5_lPT0_l.has_dyn_sized_stack, 0
	.set _ZN9rocsolver6v33100L18larfg_kernel_smallILi128EdidPKPdEEvT1_T3_llPT2_llS6_lS5_lPT0_l.has_recursion, 0
	.set _ZN9rocsolver6v33100L18larfg_kernel_smallILi128EdidPKPdEEvT1_T3_llPT2_llS6_lS5_lPT0_l.has_indirect_call, 0
	.section	.AMDGPU.csdata,"",@progbits
; Kernel info:
; codeLenInByte = 1440
; TotalNumSgprs: 34
; NumVgprs: 18
; NumAgprs: 0
; TotalNumVgprs: 18
; ScratchSize: 0
; MemoryBound: 0
; FloatMode: 240
; IeeeMode: 1
; LDSByteSize: 16 bytes/workgroup (compile time only)
; SGPRBlocks: 4
; VGPRBlocks: 2
; NumSGPRsForWavesPerEU: 34
; NumVGPRsForWavesPerEU: 18
; AccumOffset: 20
; Occupancy: 8
; WaveLimiterHint : 1
; COMPUTE_PGM_RSRC2:SCRATCH_EN: 0
; COMPUTE_PGM_RSRC2:USER_SGPR: 2
; COMPUTE_PGM_RSRC2:TRAP_HANDLER: 0
; COMPUTE_PGM_RSRC2:TGID_X_EN: 1
; COMPUTE_PGM_RSRC2:TGID_Y_EN: 0
; COMPUTE_PGM_RSRC2:TGID_Z_EN: 1
; COMPUTE_PGM_RSRC2:TIDIG_COMP_CNT: 0
; COMPUTE_PGM_RSRC3_GFX90A:ACCUM_OFFSET: 4
; COMPUTE_PGM_RSRC3_GFX90A:TG_SPLIT: 0
	.section	.text._ZN9rocsolver6v33100L18larfg_kernel_smallILi256EdidPKPdEEvT1_T3_llPT2_llS6_lS5_lPT0_l,"axG",@progbits,_ZN9rocsolver6v33100L18larfg_kernel_smallILi256EdidPKPdEEvT1_T3_llPT2_llS6_lS5_lPT0_l,comdat
	.globl	_ZN9rocsolver6v33100L18larfg_kernel_smallILi256EdidPKPdEEvT1_T3_llPT2_llS6_lS5_lPT0_l ; -- Begin function _ZN9rocsolver6v33100L18larfg_kernel_smallILi256EdidPKPdEEvT1_T3_llPT2_llS6_lS5_lPT0_l
	.p2align	8
	.type	_ZN9rocsolver6v33100L18larfg_kernel_smallILi256EdidPKPdEEvT1_T3_llPT2_llS6_lS5_lPT0_l,@function
_ZN9rocsolver6v33100L18larfg_kernel_smallILi256EdidPKPdEEvT1_T3_llPT2_llS6_lS5_lPT0_l: ; @_ZN9rocsolver6v33100L18larfg_kernel_smallILi256EdidPKPdEEvT1_T3_llPT2_llS6_lS5_lPT0_l
; %bb.0:
	s_mov_b32 s16, s3
	s_load_dwordx4 s[12:15], s[0:1], 0x8
	s_load_dwordx8 s[4:11], s[0:1], 0x20
	s_load_dwordx2 s[2:3], s[0:1], 0x40
	s_ashr_i32 s17, s16, 31
	s_lshl_b64 s[18:19], s[16:17], 3
	s_waitcnt lgkmcnt(0)
	s_add_u32 s12, s12, s18
	s_addc_u32 s13, s13, s19
	s_add_u32 s10, s10, s18
	s_addc_u32 s11, s11, s19
	s_load_dwordx2 s[18:19], s[10:11], 0x0
	s_cmp_eq_u64 s[4:5], 0
	s_mov_b64 s[10:11], 0
	s_cbranch_scc1 .LBB7_2
; %bb.1:
	s_mul_i32 s10, s8, s17
	s_mul_hi_u32 s11, s8, s16
	s_add_i32 s10, s11, s10
	s_mul_i32 s9, s9, s16
	s_add_i32 s9, s10, s9
	s_mul_i32 s8, s8, s16
	s_lshl_b64 s[8:9], s[8:9], 3
	s_add_u32 s8, s4, s8
	s_addc_u32 s9, s5, s9
	s_lshl_b64 s[4:5], s[6:7], 3
	s_add_u32 s10, s8, s4
	s_addc_u32 s11, s9, s5
.LBB7_2:
	s_load_dwordx2 s[8:9], s[12:13], 0x0
	s_load_dword s22, s[0:1], 0x0
	s_load_dword s23, s[0:1], 0x48
	s_lshl_b64 s[2:3], s[2:3], 3
	s_waitcnt lgkmcnt(0)
	s_add_u32 s4, s18, s2
	s_addc_u32 s5, s19, s3
	s_add_i32 s22, s22, -1
	v_cmp_gt_i32_e64 s[2:3], s22, v0
	v_mov_b64_e32 v[4:5], 0
	v_mul_lo_u32 v2, v0, s23
	s_and_saveexec_b64 s[6:7], s[2:3]
	s_cbranch_execz .LBB7_6
; %bb.3:
	v_mul_lo_u32 v6, v0, s23
	s_lshl_b32 s18, s23, 8
	v_mov_b64_e32 v[4:5], 0
	s_mov_b64 s[12:13], 0
	v_mov_b32_e32 v1, v0
.LBB7_4:                                ; =>This Inner Loop Header: Depth=1
	v_ashrrev_i32_e32 v7, 31, v6
	v_lshl_add_u64 v[8:9], v[6:7], 3, s[4:5]
	flat_load_dwordx2 v[8:9], v[8:9]
	v_add_u32_e32 v1, 0x100, v1
	v_cmp_le_i32_e32 vcc, s22, v1
	s_or_b64 s[12:13], vcc, s[12:13]
	v_add_u32_e32 v6, s18, v6
	s_waitcnt vmcnt(0) lgkmcnt(0)
	v_fmac_f64_e32 v[4:5], v[8:9], v[8:9]
	s_andn2_b64 exec, exec, s[12:13]
	s_cbranch_execnz .LBB7_4
; %bb.5:
	s_or_b64 exec, exec, s[12:13]
.LBB7_6:
	s_or_b64 exec, exec, s[6:7]
	v_mbcnt_lo_u32_b32 v1, -1, 0
	v_mbcnt_hi_u32_b32 v1, -1, v1
	v_and_b32_e32 v3, 63, v1
	v_cmp_ne_u32_e32 vcc, 63, v3
	s_nop 1
	v_addc_co_u32_e32 v6, vcc, 0, v1, vcc
	v_lshlrev_b32_e32 v7, 2, v6
	ds_bpermute_b32 v6, v7, v4
	ds_bpermute_b32 v7, v7, v5
	v_cmp_gt_u32_e32 vcc, 62, v3
	s_waitcnt lgkmcnt(0)
	v_add_f64 v[4:5], v[4:5], v[6:7]
	v_cndmask_b32_e64 v6, 0, 2, vcc
	v_add_lshl_u32 v7, v6, v1, 2
	ds_bpermute_b32 v6, v7, v4
	ds_bpermute_b32 v7, v7, v5
	v_cmp_gt_u32_e32 vcc, 60, v3
	s_waitcnt lgkmcnt(0)
	v_add_f64 v[4:5], v[4:5], v[6:7]
	v_cndmask_b32_e64 v6, 0, 4, vcc
	v_add_lshl_u32 v7, v6, v1, 2
	ds_bpermute_b32 v6, v7, v4
	ds_bpermute_b32 v7, v7, v5
	v_cmp_gt_u32_e32 vcc, 56, v3
	s_waitcnt lgkmcnt(0)
	v_add_f64 v[4:5], v[4:5], v[6:7]
	v_cndmask_b32_e64 v6, 0, 8, vcc
	v_add_lshl_u32 v7, v6, v1, 2
	ds_bpermute_b32 v6, v7, v4
	ds_bpermute_b32 v7, v7, v5
	v_cmp_gt_u32_e32 vcc, 48, v3
	s_waitcnt lgkmcnt(0)
	v_add_f64 v[4:5], v[4:5], v[6:7]
	v_cndmask_b32_e64 v3, 0, 16, vcc
	v_add_lshl_u32 v3, v3, v1, 2
	ds_bpermute_b32 v6, v3, v4
	ds_bpermute_b32 v7, v3, v5
	v_mov_b32_e32 v3, 0x80
	v_lshl_or_b32 v1, v1, 2, v3
	s_waitcnt lgkmcnt(0)
	v_add_f64 v[4:5], v[4:5], v[6:7]
	ds_bpermute_b32 v6, v1, v4
	ds_bpermute_b32 v7, v1, v5
	v_and_b32_e32 v1, 63, v0
	v_cmp_eq_u32_e32 vcc, 0, v1
	s_waitcnt lgkmcnt(0)
	v_add_f64 v[4:5], v[4:5], v[6:7]
	s_and_saveexec_b64 s[6:7], vcc
; %bb.7:
	v_lshrrev_b32_e32 v1, 3, v0
	ds_write_b64 v1, v[4:5]
; %bb.8:
	s_or_b64 exec, exec, s[6:7]
	v_cmp_eq_u32_e32 vcc, 0, v0
	s_waitcnt lgkmcnt(0)
	s_barrier
	s_and_saveexec_b64 s[6:7], vcc
	s_cbranch_execz .LBB7_10
; %bb.9:
	v_mov_b32_e32 v1, 0
	ds_read2_b64 v[6:9], v1 offset0:1 offset1:2
	ds_read_b64 v[10:11], v1 offset:24
	s_waitcnt lgkmcnt(1)
	v_add_f64 v[4:5], v[4:5], v[6:7]
	v_add_f64 v[4:5], v[4:5], v[8:9]
	s_waitcnt lgkmcnt(0)
	v_add_f64 v[4:5], v[4:5], v[10:11]
	ds_write_b64 v1, v[4:5]
.LBB7_10:
	s_or_b64 exec, exec, s[6:7]
	s_waitcnt lgkmcnt(0)
	s_barrier
	s_and_saveexec_b64 s[6:7], vcc
	s_cbranch_execz .LBB7_17
; %bb.11:
	s_load_dwordx4 s[24:27], s[0:1], 0x58
	s_lshl_b64 s[0:1], s[14:15], 3
	s_add_u32 s0, s8, s0
	s_addc_u32 s1, s9, s1
	v_mov_b32_e32 v4, 0
	s_waitcnt lgkmcnt(0)
	s_mul_i32 s8, s26, s17
	s_mul_hi_u32 s9, s26, s16
	s_add_i32 s8, s9, s8
	s_mul_i32 s9, s27, s16
	s_add_i32 s9, s8, s9
	s_mul_i32 s8, s26, s16
	ds_read_b64 v[6:7], v4
	s_lshl_b64 s[8:9], s[8:9], 3
	s_add_u32 s8, s24, s8
	s_addc_u32 s9, s25, s9
	s_cmp_eq_u64 s[10:11], 0
	s_cselect_b64 s[14:15], -1, 0
	s_cmp_lg_u64 s[10:11], 0
	s_waitcnt lgkmcnt(0)
	v_cmp_nlt_f64_e32 vcc, 0, v[6:7]
	s_mov_b64 s[16:17], 0
	s_cselect_b64 s[12:13], -1, 0
	s_cbranch_vccz .LBB7_21
; %bb.12:
	v_mov_b32_e32 v5, 0x3ff00000
	ds_write_b64 v4, v[4:5]
	v_mov_b32_e32 v5, v4
	s_mov_b64 s[20:21], 0
	s_and_b64 vcc, exec, s[12:13]
	s_mov_b64 s[18:19], 0
	global_store_dwordx2 v4, v[4:5], s[8:9]
                                        ; implicit-def: $vgpr4_vgpr5
	s_cbranch_vccnz .LBB7_22
; %bb.13:
	s_and_b64 vcc, exec, s[20:21]
	s_cbranch_vccnz .LBB7_23
.LBB7_14:
	s_andn2_b64 vcc, exec, s[18:19]
	s_cbranch_vccz .LBB7_24
.LBB7_15:
	s_andn2_b64 vcc, exec, s[16:17]
	s_cbranch_vccnz .LBB7_17
.LBB7_16:
	v_mov_b64_e32 v[6:7], s[0:1]
	s_waitcnt vmcnt(0) lgkmcnt(0)
	flat_store_dwordx2 v[6:7], v[4:5]
.LBB7_17:
	s_or_b64 exec, exec, s[6:7]
	s_waitcnt lgkmcnt(0)
	s_barrier
	s_and_saveexec_b64 s[0:1], s[2:3]
	s_cbranch_execz .LBB7_20
; %bb.18:
	v_mov_b32_e32 v1, 0
	s_waitcnt vmcnt(0)
	ds_read_b64 v[4:5], v1
	s_lshl_b32 s2, s23, 8
	s_mov_b64 s[0:1], 0
.LBB7_19:                               ; =>This Inner Loop Header: Depth=1
	v_ashrrev_i32_e32 v3, 31, v2
	v_lshl_add_u64 v[6:7], v[2:3], 3, s[4:5]
	flat_load_dwordx2 v[8:9], v[6:7]
	v_add_u32_e32 v0, 0x100, v0
	v_cmp_le_i32_e32 vcc, s22, v0
	s_or_b64 s[0:1], vcc, s[0:1]
	v_add_u32_e32 v2, s2, v2
	s_waitcnt vmcnt(0) lgkmcnt(0)
	v_mul_f64 v[8:9], v[4:5], v[8:9]
	flat_store_dwordx2 v[6:7], v[8:9]
	s_andn2_b64 exec, exec, s[0:1]
	s_cbranch_execnz .LBB7_19
.LBB7_20:
	s_endpgm
.LBB7_21:
                                        ; implicit-def: $vgpr4_vgpr5
	s_mov_b64 s[18:19], 0
	s_cbranch_execz .LBB7_14
	s_branch .LBB7_23
.LBB7_22:
	v_mov_b64_e32 v[4:5], s[0:1]
	flat_load_dwordx2 v[4:5], v[4:5]
	s_mov_b64 s[18:19], -1
	s_and_b64 vcc, exec, s[20:21]
	s_cbranch_vccz .LBB7_14
.LBB7_23:
	v_mov_b64_e32 v[8:9], s[0:1]
	flat_load_dwordx2 v[10:11], v[8:9]
	s_mov_b32 s16, 0
	s_brev_b32 s17, 8
	v_mov_b32_e32 v1, 0x100
	v_mov_b32_e32 v3, 0x260
	s_mov_b64 s[18:19], s[12:13]
	s_waitcnt vmcnt(0) lgkmcnt(0)
	v_fmac_f64_e32 v[6:7], v[10:11], v[10:11]
	v_cmp_gt_f64_e32 vcc, s[16:17], v[6:7]
	s_nop 1
	v_cndmask_b32_e32 v1, 0, v1, vcc
	v_ldexp_f64 v[4:5], v[6:7], v1
	v_rsq_f64_e32 v[6:7], v[4:5]
	v_mov_b32_e32 v1, 0xffffff80
	v_cndmask_b32_e32 v1, 0, v1, vcc
	v_cmp_class_f64_e32 vcc, v[4:5], v3
	v_mul_f64 v[12:13], v[4:5], v[6:7]
	v_mul_f64 v[6:7], v[6:7], 0.5
	v_fma_f64 v[14:15], -v[6:7], v[12:13], 0.5
	v_fmac_f64_e32 v[12:13], v[12:13], v[14:15]
	v_fmac_f64_e32 v[6:7], v[6:7], v[14:15]
	v_fma_f64 v[14:15], -v[12:13], v[12:13], v[4:5]
	v_fmac_f64_e32 v[12:13], v[14:15], v[6:7]
	v_fma_f64 v[14:15], -v[12:13], v[12:13], v[4:5]
	v_fmac_f64_e32 v[12:13], v[14:15], v[6:7]
	v_ldexp_f64 v[6:7], v[12:13], v1
	v_cndmask_b32_e32 v1, v7, v5, vcc
	v_cndmask_b32_e32 v4, v6, v4, vcc
	v_xor_b32_e32 v3, 0x80000000, v1
	v_cmp_le_f64_e32 vcc, 0, v[10:11]
	s_nop 1
	v_cndmask_b32_e32 v5, v1, v3, vcc
	v_add_f64 v[6:7], v[10:11], -v[4:5]
	v_div_scale_f64 v[10:11], s[16:17], v[6:7], v[6:7], 1.0
	v_rcp_f64_e32 v[12:13], v[10:11]
	v_div_scale_f64 v[14:15], vcc, 1.0, v[6:7], 1.0
	v_mov_b32_e32 v1, 0
	v_fma_f64 v[16:17], -v[10:11], v[12:13], 1.0
	v_fmac_f64_e32 v[12:13], v[12:13], v[16:17]
	v_fma_f64 v[16:17], -v[10:11], v[12:13], 1.0
	v_fmac_f64_e32 v[12:13], v[12:13], v[16:17]
	v_mul_f64 v[16:17], v[14:15], v[12:13]
	v_fma_f64 v[10:11], -v[10:11], v[16:17], v[14:15]
	v_div_fmas_f64 v[10:11], v[10:11], v[12:13], v[16:17]
	v_div_fixup_f64 v[6:7], v[10:11], v[6:7], 1.0
	ds_write_b64 v1, v[6:7]
	flat_load_dwordx2 v[6:7], v[8:9]
	s_waitcnt vmcnt(0) lgkmcnt(0)
	v_add_f64 v[6:7], v[4:5], -v[6:7]
	v_div_scale_f64 v[8:9], s[16:17], v[4:5], v[4:5], v[6:7]
	v_rcp_f64_e32 v[10:11], v[8:9]
	v_div_scale_f64 v[12:13], vcc, v[6:7], v[4:5], v[6:7]
	s_mov_b64 s[16:17], s[14:15]
	v_fma_f64 v[14:15], -v[8:9], v[10:11], 1.0
	v_fmac_f64_e32 v[10:11], v[10:11], v[14:15]
	v_fma_f64 v[14:15], -v[8:9], v[10:11], 1.0
	v_fmac_f64_e32 v[10:11], v[10:11], v[14:15]
	v_mul_f64 v[14:15], v[12:13], v[10:11]
	v_fma_f64 v[8:9], -v[8:9], v[14:15], v[12:13]
	v_div_fmas_f64 v[8:9], v[8:9], v[10:11], v[14:15]
	v_div_fixup_f64 v[6:7], v[8:9], v[4:5], v[6:7]
	global_store_dwordx2 v1, v[6:7], s[8:9]
	s_andn2_b64 vcc, exec, s[18:19]
	s_cbranch_vccnz .LBB7_15
.LBB7_24:
	v_mov_b32_e32 v1, 0
	s_waitcnt vmcnt(0) lgkmcnt(0)
	global_store_dwordx2 v1, v[4:5], s[10:11]
	v_mov_b64_e32 v[4:5], 1.0
	s_branch .LBB7_16
	.section	.rodata,"a",@progbits
	.p2align	6, 0x0
	.amdhsa_kernel _ZN9rocsolver6v33100L18larfg_kernel_smallILi256EdidPKPdEEvT1_T3_llPT2_llS6_lS5_lPT0_l
		.amdhsa_group_segment_fixed_size 32
		.amdhsa_private_segment_fixed_size 0
		.amdhsa_kernarg_size 104
		.amdhsa_user_sgpr_count 2
		.amdhsa_user_sgpr_dispatch_ptr 0
		.amdhsa_user_sgpr_queue_ptr 0
		.amdhsa_user_sgpr_kernarg_segment_ptr 1
		.amdhsa_user_sgpr_dispatch_id 0
		.amdhsa_user_sgpr_kernarg_preload_length 0
		.amdhsa_user_sgpr_kernarg_preload_offset 0
		.amdhsa_user_sgpr_private_segment_size 0
		.amdhsa_uses_dynamic_stack 0
		.amdhsa_enable_private_segment 0
		.amdhsa_system_sgpr_workgroup_id_x 1
		.amdhsa_system_sgpr_workgroup_id_y 0
		.amdhsa_system_sgpr_workgroup_id_z 1
		.amdhsa_system_sgpr_workgroup_info 0
		.amdhsa_system_vgpr_workitem_id 0
		.amdhsa_next_free_vgpr 18
		.amdhsa_next_free_sgpr 28
		.amdhsa_accum_offset 20
		.amdhsa_reserve_vcc 1
		.amdhsa_float_round_mode_32 0
		.amdhsa_float_round_mode_16_64 0
		.amdhsa_float_denorm_mode_32 3
		.amdhsa_float_denorm_mode_16_64 3
		.amdhsa_dx10_clamp 1
		.amdhsa_ieee_mode 1
		.amdhsa_fp16_overflow 0
		.amdhsa_tg_split 0
		.amdhsa_exception_fp_ieee_invalid_op 0
		.amdhsa_exception_fp_denorm_src 0
		.amdhsa_exception_fp_ieee_div_zero 0
		.amdhsa_exception_fp_ieee_overflow 0
		.amdhsa_exception_fp_ieee_underflow 0
		.amdhsa_exception_fp_ieee_inexact 0
		.amdhsa_exception_int_div_zero 0
	.end_amdhsa_kernel
	.section	.text._ZN9rocsolver6v33100L18larfg_kernel_smallILi256EdidPKPdEEvT1_T3_llPT2_llS6_lS5_lPT0_l,"axG",@progbits,_ZN9rocsolver6v33100L18larfg_kernel_smallILi256EdidPKPdEEvT1_T3_llPT2_llS6_lS5_lPT0_l,comdat
.Lfunc_end7:
	.size	_ZN9rocsolver6v33100L18larfg_kernel_smallILi256EdidPKPdEEvT1_T3_llPT2_llS6_lS5_lPT0_l, .Lfunc_end7-_ZN9rocsolver6v33100L18larfg_kernel_smallILi256EdidPKPdEEvT1_T3_llPT2_llS6_lS5_lPT0_l
                                        ; -- End function
	.set _ZN9rocsolver6v33100L18larfg_kernel_smallILi256EdidPKPdEEvT1_T3_llPT2_llS6_lS5_lPT0_l.num_vgpr, 18
	.set _ZN9rocsolver6v33100L18larfg_kernel_smallILi256EdidPKPdEEvT1_T3_llPT2_llS6_lS5_lPT0_l.num_agpr, 0
	.set _ZN9rocsolver6v33100L18larfg_kernel_smallILi256EdidPKPdEEvT1_T3_llPT2_llS6_lS5_lPT0_l.numbered_sgpr, 28
	.set _ZN9rocsolver6v33100L18larfg_kernel_smallILi256EdidPKPdEEvT1_T3_llPT2_llS6_lS5_lPT0_l.num_named_barrier, 0
	.set _ZN9rocsolver6v33100L18larfg_kernel_smallILi256EdidPKPdEEvT1_T3_llPT2_llS6_lS5_lPT0_l.private_seg_size, 0
	.set _ZN9rocsolver6v33100L18larfg_kernel_smallILi256EdidPKPdEEvT1_T3_llPT2_llS6_lS5_lPT0_l.uses_vcc, 1
	.set _ZN9rocsolver6v33100L18larfg_kernel_smallILi256EdidPKPdEEvT1_T3_llPT2_llS6_lS5_lPT0_l.uses_flat_scratch, 0
	.set _ZN9rocsolver6v33100L18larfg_kernel_smallILi256EdidPKPdEEvT1_T3_llPT2_llS6_lS5_lPT0_l.has_dyn_sized_stack, 0
	.set _ZN9rocsolver6v33100L18larfg_kernel_smallILi256EdidPKPdEEvT1_T3_llPT2_llS6_lS5_lPT0_l.has_recursion, 0
	.set _ZN9rocsolver6v33100L18larfg_kernel_smallILi256EdidPKPdEEvT1_T3_llPT2_llS6_lS5_lPT0_l.has_indirect_call, 0
	.section	.AMDGPU.csdata,"",@progbits
; Kernel info:
; codeLenInByte = 1468
; TotalNumSgprs: 34
; NumVgprs: 18
; NumAgprs: 0
; TotalNumVgprs: 18
; ScratchSize: 0
; MemoryBound: 0
; FloatMode: 240
; IeeeMode: 1
; LDSByteSize: 32 bytes/workgroup (compile time only)
; SGPRBlocks: 4
; VGPRBlocks: 2
; NumSGPRsForWavesPerEU: 34
; NumVGPRsForWavesPerEU: 18
; AccumOffset: 20
; Occupancy: 8
; WaveLimiterHint : 1
; COMPUTE_PGM_RSRC2:SCRATCH_EN: 0
; COMPUTE_PGM_RSRC2:USER_SGPR: 2
; COMPUTE_PGM_RSRC2:TRAP_HANDLER: 0
; COMPUTE_PGM_RSRC2:TGID_X_EN: 1
; COMPUTE_PGM_RSRC2:TGID_Y_EN: 0
; COMPUTE_PGM_RSRC2:TGID_Z_EN: 1
; COMPUTE_PGM_RSRC2:TIDIG_COMP_CNT: 0
; COMPUTE_PGM_RSRC3_GFX90A:ACCUM_OFFSET: 4
; COMPUTE_PGM_RSRC3_GFX90A:TG_SPLIT: 0
	.section	.text._ZN9rocsolver6v33100L18larfg_kernel_smallILi512EdidPKPdEEvT1_T3_llPT2_llS6_lS5_lPT0_l,"axG",@progbits,_ZN9rocsolver6v33100L18larfg_kernel_smallILi512EdidPKPdEEvT1_T3_llPT2_llS6_lS5_lPT0_l,comdat
	.globl	_ZN9rocsolver6v33100L18larfg_kernel_smallILi512EdidPKPdEEvT1_T3_llPT2_llS6_lS5_lPT0_l ; -- Begin function _ZN9rocsolver6v33100L18larfg_kernel_smallILi512EdidPKPdEEvT1_T3_llPT2_llS6_lS5_lPT0_l
	.p2align	8
	.type	_ZN9rocsolver6v33100L18larfg_kernel_smallILi512EdidPKPdEEvT1_T3_llPT2_llS6_lS5_lPT0_l,@function
_ZN9rocsolver6v33100L18larfg_kernel_smallILi512EdidPKPdEEvT1_T3_llPT2_llS6_lS5_lPT0_l: ; @_ZN9rocsolver6v33100L18larfg_kernel_smallILi512EdidPKPdEEvT1_T3_llPT2_llS6_lS5_lPT0_l
; %bb.0:
	s_mov_b32 s16, s3
	s_load_dwordx4 s[12:15], s[0:1], 0x8
	s_load_dwordx8 s[4:11], s[0:1], 0x20
	s_load_dwordx2 s[2:3], s[0:1], 0x40
	s_ashr_i32 s17, s16, 31
	s_lshl_b64 s[18:19], s[16:17], 3
	s_waitcnt lgkmcnt(0)
	s_add_u32 s12, s12, s18
	s_addc_u32 s13, s13, s19
	s_add_u32 s10, s10, s18
	s_addc_u32 s11, s11, s19
	s_load_dwordx2 s[18:19], s[10:11], 0x0
	s_cmp_eq_u64 s[4:5], 0
	s_mov_b64 s[10:11], 0
	s_cbranch_scc1 .LBB8_2
; %bb.1:
	s_mul_i32 s10, s8, s17
	s_mul_hi_u32 s11, s8, s16
	s_add_i32 s10, s11, s10
	s_mul_i32 s9, s9, s16
	s_add_i32 s9, s10, s9
	s_mul_i32 s8, s8, s16
	s_lshl_b64 s[8:9], s[8:9], 3
	s_add_u32 s8, s4, s8
	s_addc_u32 s9, s5, s9
	s_lshl_b64 s[4:5], s[6:7], 3
	s_add_u32 s10, s8, s4
	s_addc_u32 s11, s9, s5
.LBB8_2:
	s_load_dwordx2 s[8:9], s[12:13], 0x0
	s_load_dword s22, s[0:1], 0x0
	s_load_dword s23, s[0:1], 0x48
	s_lshl_b64 s[2:3], s[2:3], 3
	s_waitcnt lgkmcnt(0)
	s_add_u32 s4, s18, s2
	s_addc_u32 s5, s19, s3
	s_add_i32 s22, s22, -1
	v_cmp_gt_i32_e64 s[2:3], s22, v0
	v_mov_b64_e32 v[4:5], 0
	v_mul_lo_u32 v2, v0, s23
	s_and_saveexec_b64 s[6:7], s[2:3]
	s_cbranch_execz .LBB8_6
; %bb.3:
	v_mul_lo_u32 v6, v0, s23
	s_lshl_b32 s18, s23, 9
	v_mov_b64_e32 v[4:5], 0
	s_mov_b64 s[12:13], 0
	v_mov_b32_e32 v1, v0
.LBB8_4:                                ; =>This Inner Loop Header: Depth=1
	v_ashrrev_i32_e32 v7, 31, v6
	v_lshl_add_u64 v[8:9], v[6:7], 3, s[4:5]
	flat_load_dwordx2 v[8:9], v[8:9]
	v_add_u32_e32 v1, 0x200, v1
	v_cmp_le_i32_e32 vcc, s22, v1
	s_or_b64 s[12:13], vcc, s[12:13]
	v_add_u32_e32 v6, s18, v6
	s_waitcnt vmcnt(0) lgkmcnt(0)
	v_fmac_f64_e32 v[4:5], v[8:9], v[8:9]
	s_andn2_b64 exec, exec, s[12:13]
	s_cbranch_execnz .LBB8_4
; %bb.5:
	s_or_b64 exec, exec, s[12:13]
.LBB8_6:
	s_or_b64 exec, exec, s[6:7]
	v_mbcnt_lo_u32_b32 v1, -1, 0
	v_mbcnt_hi_u32_b32 v1, -1, v1
	v_and_b32_e32 v3, 63, v1
	v_cmp_ne_u32_e32 vcc, 63, v3
	s_nop 1
	v_addc_co_u32_e32 v6, vcc, 0, v1, vcc
	v_lshlrev_b32_e32 v7, 2, v6
	ds_bpermute_b32 v6, v7, v4
	ds_bpermute_b32 v7, v7, v5
	v_cmp_gt_u32_e32 vcc, 62, v3
	s_waitcnt lgkmcnt(0)
	v_add_f64 v[4:5], v[4:5], v[6:7]
	v_cndmask_b32_e64 v6, 0, 2, vcc
	v_add_lshl_u32 v7, v6, v1, 2
	ds_bpermute_b32 v6, v7, v4
	ds_bpermute_b32 v7, v7, v5
	v_cmp_gt_u32_e32 vcc, 60, v3
	s_waitcnt lgkmcnt(0)
	v_add_f64 v[4:5], v[4:5], v[6:7]
	v_cndmask_b32_e64 v6, 0, 4, vcc
	v_add_lshl_u32 v7, v6, v1, 2
	;; [unrolled: 7-line block ×4, first 2 shown]
	ds_bpermute_b32 v6, v3, v4
	ds_bpermute_b32 v7, v3, v5
	v_mov_b32_e32 v3, 0x80
	v_lshl_or_b32 v1, v1, 2, v3
	s_waitcnt lgkmcnt(0)
	v_add_f64 v[4:5], v[4:5], v[6:7]
	ds_bpermute_b32 v6, v1, v4
	ds_bpermute_b32 v7, v1, v5
	v_and_b32_e32 v1, 63, v0
	v_cmp_eq_u32_e32 vcc, 0, v1
	s_waitcnt lgkmcnt(0)
	v_add_f64 v[4:5], v[4:5], v[6:7]
	s_and_saveexec_b64 s[6:7], vcc
; %bb.7:
	v_lshrrev_b32_e32 v1, 3, v0
	ds_write_b64 v1, v[4:5]
; %bb.8:
	s_or_b64 exec, exec, s[6:7]
	v_cmp_eq_u32_e32 vcc, 0, v0
	s_waitcnt lgkmcnt(0)
	s_barrier
	s_and_saveexec_b64 s[6:7], vcc
	s_cbranch_execz .LBB8_10
; %bb.9:
	v_mov_b32_e32 v1, 0
	ds_read2_b64 v[6:9], v1 offset0:1 offset1:2
	ds_read2_b64 v[10:13], v1 offset0:3 offset1:4
	;; [unrolled: 1-line block ×3, first 2 shown]
	s_waitcnt lgkmcnt(2)
	v_add_f64 v[4:5], v[4:5], v[6:7]
	v_add_f64 v[4:5], v[4:5], v[8:9]
	ds_read_b64 v[6:7], v1 offset:56
	s_waitcnt lgkmcnt(2)
	v_add_f64 v[4:5], v[4:5], v[10:11]
	v_add_f64 v[4:5], v[4:5], v[12:13]
	s_waitcnt lgkmcnt(1)
	v_add_f64 v[4:5], v[4:5], v[14:15]
	v_add_f64 v[4:5], v[4:5], v[16:17]
	s_waitcnt lgkmcnt(0)
	v_add_f64 v[4:5], v[4:5], v[6:7]
	ds_write_b64 v1, v[4:5]
.LBB8_10:
	s_or_b64 exec, exec, s[6:7]
	s_waitcnt lgkmcnt(0)
	s_barrier
	s_and_saveexec_b64 s[6:7], vcc
	s_cbranch_execz .LBB8_17
; %bb.11:
	s_load_dwordx4 s[24:27], s[0:1], 0x58
	s_lshl_b64 s[0:1], s[14:15], 3
	s_add_u32 s0, s8, s0
	s_addc_u32 s1, s9, s1
	v_mov_b32_e32 v4, 0
	s_waitcnt lgkmcnt(0)
	s_mul_i32 s8, s26, s17
	s_mul_hi_u32 s9, s26, s16
	s_add_i32 s8, s9, s8
	s_mul_i32 s9, s27, s16
	s_add_i32 s9, s8, s9
	s_mul_i32 s8, s26, s16
	ds_read_b64 v[6:7], v4
	s_lshl_b64 s[8:9], s[8:9], 3
	s_add_u32 s8, s24, s8
	s_addc_u32 s9, s25, s9
	s_cmp_eq_u64 s[10:11], 0
	s_cselect_b64 s[14:15], -1, 0
	s_cmp_lg_u64 s[10:11], 0
	s_waitcnt lgkmcnt(0)
	v_cmp_nlt_f64_e32 vcc, 0, v[6:7]
	s_mov_b64 s[16:17], 0
	s_cselect_b64 s[12:13], -1, 0
	s_cbranch_vccz .LBB8_21
; %bb.12:
	v_mov_b32_e32 v5, 0x3ff00000
	ds_write_b64 v4, v[4:5]
	v_mov_b32_e32 v5, v4
	s_mov_b64 s[20:21], 0
	s_and_b64 vcc, exec, s[12:13]
	s_mov_b64 s[18:19], 0
	global_store_dwordx2 v4, v[4:5], s[8:9]
                                        ; implicit-def: $vgpr4_vgpr5
	s_cbranch_vccnz .LBB8_22
; %bb.13:
	s_and_b64 vcc, exec, s[20:21]
	s_cbranch_vccnz .LBB8_23
.LBB8_14:
	s_andn2_b64 vcc, exec, s[18:19]
	s_cbranch_vccz .LBB8_24
.LBB8_15:
	s_andn2_b64 vcc, exec, s[16:17]
	s_cbranch_vccnz .LBB8_17
.LBB8_16:
	v_mov_b64_e32 v[6:7], s[0:1]
	s_waitcnt vmcnt(0) lgkmcnt(0)
	flat_store_dwordx2 v[6:7], v[4:5]
.LBB8_17:
	s_or_b64 exec, exec, s[6:7]
	s_waitcnt lgkmcnt(0)
	s_barrier
	s_and_saveexec_b64 s[0:1], s[2:3]
	s_cbranch_execz .LBB8_20
; %bb.18:
	v_mov_b32_e32 v1, 0
	s_waitcnt vmcnt(0)
	ds_read_b64 v[4:5], v1
	s_lshl_b32 s2, s23, 9
	s_mov_b64 s[0:1], 0
.LBB8_19:                               ; =>This Inner Loop Header: Depth=1
	v_ashrrev_i32_e32 v3, 31, v2
	v_lshl_add_u64 v[6:7], v[2:3], 3, s[4:5]
	flat_load_dwordx2 v[8:9], v[6:7]
	v_add_u32_e32 v0, 0x200, v0
	v_cmp_le_i32_e32 vcc, s22, v0
	s_or_b64 s[0:1], vcc, s[0:1]
	v_add_u32_e32 v2, s2, v2
	s_waitcnt vmcnt(0) lgkmcnt(0)
	v_mul_f64 v[8:9], v[4:5], v[8:9]
	flat_store_dwordx2 v[6:7], v[8:9]
	s_andn2_b64 exec, exec, s[0:1]
	s_cbranch_execnz .LBB8_19
.LBB8_20:
	s_endpgm
.LBB8_21:
                                        ; implicit-def: $vgpr4_vgpr5
	s_mov_b64 s[18:19], 0
	s_cbranch_execz .LBB8_14
	s_branch .LBB8_23
.LBB8_22:
	v_mov_b64_e32 v[4:5], s[0:1]
	flat_load_dwordx2 v[4:5], v[4:5]
	s_mov_b64 s[18:19], -1
	s_and_b64 vcc, exec, s[20:21]
	s_cbranch_vccz .LBB8_14
.LBB8_23:
	v_mov_b64_e32 v[8:9], s[0:1]
	flat_load_dwordx2 v[10:11], v[8:9]
	s_mov_b32 s16, 0
	s_brev_b32 s17, 8
	v_mov_b32_e32 v1, 0x100
	v_mov_b32_e32 v3, 0x260
	s_mov_b64 s[18:19], s[12:13]
	s_waitcnt vmcnt(0) lgkmcnt(0)
	v_fmac_f64_e32 v[6:7], v[10:11], v[10:11]
	v_cmp_gt_f64_e32 vcc, s[16:17], v[6:7]
	s_nop 1
	v_cndmask_b32_e32 v1, 0, v1, vcc
	v_ldexp_f64 v[4:5], v[6:7], v1
	v_rsq_f64_e32 v[6:7], v[4:5]
	v_mov_b32_e32 v1, 0xffffff80
	v_cndmask_b32_e32 v1, 0, v1, vcc
	v_cmp_class_f64_e32 vcc, v[4:5], v3
	v_mul_f64 v[12:13], v[4:5], v[6:7]
	v_mul_f64 v[6:7], v[6:7], 0.5
	v_fma_f64 v[14:15], -v[6:7], v[12:13], 0.5
	v_fmac_f64_e32 v[12:13], v[12:13], v[14:15]
	v_fmac_f64_e32 v[6:7], v[6:7], v[14:15]
	v_fma_f64 v[14:15], -v[12:13], v[12:13], v[4:5]
	v_fmac_f64_e32 v[12:13], v[14:15], v[6:7]
	v_fma_f64 v[14:15], -v[12:13], v[12:13], v[4:5]
	v_fmac_f64_e32 v[12:13], v[14:15], v[6:7]
	v_ldexp_f64 v[6:7], v[12:13], v1
	v_cndmask_b32_e32 v1, v7, v5, vcc
	v_cndmask_b32_e32 v4, v6, v4, vcc
	v_xor_b32_e32 v3, 0x80000000, v1
	v_cmp_le_f64_e32 vcc, 0, v[10:11]
	s_nop 1
	v_cndmask_b32_e32 v5, v1, v3, vcc
	v_add_f64 v[6:7], v[10:11], -v[4:5]
	v_div_scale_f64 v[10:11], s[16:17], v[6:7], v[6:7], 1.0
	v_rcp_f64_e32 v[12:13], v[10:11]
	v_div_scale_f64 v[14:15], vcc, 1.0, v[6:7], 1.0
	v_mov_b32_e32 v1, 0
	v_fma_f64 v[16:17], -v[10:11], v[12:13], 1.0
	v_fmac_f64_e32 v[12:13], v[12:13], v[16:17]
	v_fma_f64 v[16:17], -v[10:11], v[12:13], 1.0
	v_fmac_f64_e32 v[12:13], v[12:13], v[16:17]
	v_mul_f64 v[16:17], v[14:15], v[12:13]
	v_fma_f64 v[10:11], -v[10:11], v[16:17], v[14:15]
	v_div_fmas_f64 v[10:11], v[10:11], v[12:13], v[16:17]
	v_div_fixup_f64 v[6:7], v[10:11], v[6:7], 1.0
	ds_write_b64 v1, v[6:7]
	flat_load_dwordx2 v[6:7], v[8:9]
	s_waitcnt vmcnt(0) lgkmcnt(0)
	v_add_f64 v[6:7], v[4:5], -v[6:7]
	v_div_scale_f64 v[8:9], s[16:17], v[4:5], v[4:5], v[6:7]
	v_rcp_f64_e32 v[10:11], v[8:9]
	v_div_scale_f64 v[12:13], vcc, v[6:7], v[4:5], v[6:7]
	s_mov_b64 s[16:17], s[14:15]
	v_fma_f64 v[14:15], -v[8:9], v[10:11], 1.0
	v_fmac_f64_e32 v[10:11], v[10:11], v[14:15]
	v_fma_f64 v[14:15], -v[8:9], v[10:11], 1.0
	v_fmac_f64_e32 v[10:11], v[10:11], v[14:15]
	v_mul_f64 v[14:15], v[12:13], v[10:11]
	v_fma_f64 v[8:9], -v[8:9], v[14:15], v[12:13]
	v_div_fmas_f64 v[8:9], v[8:9], v[10:11], v[14:15]
	v_div_fixup_f64 v[6:7], v[8:9], v[4:5], v[6:7]
	global_store_dwordx2 v1, v[6:7], s[8:9]
	s_andn2_b64 vcc, exec, s[18:19]
	s_cbranch_vccnz .LBB8_15
.LBB8_24:
	v_mov_b32_e32 v1, 0
	s_waitcnt vmcnt(0) lgkmcnt(0)
	global_store_dwordx2 v1, v[4:5], s[10:11]
	v_mov_b64_e32 v[4:5], 1.0
	s_branch .LBB8_16
	.section	.rodata,"a",@progbits
	.p2align	6, 0x0
	.amdhsa_kernel _ZN9rocsolver6v33100L18larfg_kernel_smallILi512EdidPKPdEEvT1_T3_llPT2_llS6_lS5_lPT0_l
		.amdhsa_group_segment_fixed_size 64
		.amdhsa_private_segment_fixed_size 0
		.amdhsa_kernarg_size 104
		.amdhsa_user_sgpr_count 2
		.amdhsa_user_sgpr_dispatch_ptr 0
		.amdhsa_user_sgpr_queue_ptr 0
		.amdhsa_user_sgpr_kernarg_segment_ptr 1
		.amdhsa_user_sgpr_dispatch_id 0
		.amdhsa_user_sgpr_kernarg_preload_length 0
		.amdhsa_user_sgpr_kernarg_preload_offset 0
		.amdhsa_user_sgpr_private_segment_size 0
		.amdhsa_uses_dynamic_stack 0
		.amdhsa_enable_private_segment 0
		.amdhsa_system_sgpr_workgroup_id_x 1
		.amdhsa_system_sgpr_workgroup_id_y 0
		.amdhsa_system_sgpr_workgroup_id_z 1
		.amdhsa_system_sgpr_workgroup_info 0
		.amdhsa_system_vgpr_workitem_id 0
		.amdhsa_next_free_vgpr 18
		.amdhsa_next_free_sgpr 28
		.amdhsa_accum_offset 20
		.amdhsa_reserve_vcc 1
		.amdhsa_float_round_mode_32 0
		.amdhsa_float_round_mode_16_64 0
		.amdhsa_float_denorm_mode_32 3
		.amdhsa_float_denorm_mode_16_64 3
		.amdhsa_dx10_clamp 1
		.amdhsa_ieee_mode 1
		.amdhsa_fp16_overflow 0
		.amdhsa_tg_split 0
		.amdhsa_exception_fp_ieee_invalid_op 0
		.amdhsa_exception_fp_denorm_src 0
		.amdhsa_exception_fp_ieee_div_zero 0
		.amdhsa_exception_fp_ieee_overflow 0
		.amdhsa_exception_fp_ieee_underflow 0
		.amdhsa_exception_fp_ieee_inexact 0
		.amdhsa_exception_int_div_zero 0
	.end_amdhsa_kernel
	.section	.text._ZN9rocsolver6v33100L18larfg_kernel_smallILi512EdidPKPdEEvT1_T3_llPT2_llS6_lS5_lPT0_l,"axG",@progbits,_ZN9rocsolver6v33100L18larfg_kernel_smallILi512EdidPKPdEEvT1_T3_llPT2_llS6_lS5_lPT0_l,comdat
.Lfunc_end8:
	.size	_ZN9rocsolver6v33100L18larfg_kernel_smallILi512EdidPKPdEEvT1_T3_llPT2_llS6_lS5_lPT0_l, .Lfunc_end8-_ZN9rocsolver6v33100L18larfg_kernel_smallILi512EdidPKPdEEvT1_T3_llPT2_llS6_lS5_lPT0_l
                                        ; -- End function
	.set _ZN9rocsolver6v33100L18larfg_kernel_smallILi512EdidPKPdEEvT1_T3_llPT2_llS6_lS5_lPT0_l.num_vgpr, 18
	.set _ZN9rocsolver6v33100L18larfg_kernel_smallILi512EdidPKPdEEvT1_T3_llPT2_llS6_lS5_lPT0_l.num_agpr, 0
	.set _ZN9rocsolver6v33100L18larfg_kernel_smallILi512EdidPKPdEEvT1_T3_llPT2_llS6_lS5_lPT0_l.numbered_sgpr, 28
	.set _ZN9rocsolver6v33100L18larfg_kernel_smallILi512EdidPKPdEEvT1_T3_llPT2_llS6_lS5_lPT0_l.num_named_barrier, 0
	.set _ZN9rocsolver6v33100L18larfg_kernel_smallILi512EdidPKPdEEvT1_T3_llPT2_llS6_lS5_lPT0_l.private_seg_size, 0
	.set _ZN9rocsolver6v33100L18larfg_kernel_smallILi512EdidPKPdEEvT1_T3_llPT2_llS6_lS5_lPT0_l.uses_vcc, 1
	.set _ZN9rocsolver6v33100L18larfg_kernel_smallILi512EdidPKPdEEvT1_T3_llPT2_llS6_lS5_lPT0_l.uses_flat_scratch, 0
	.set _ZN9rocsolver6v33100L18larfg_kernel_smallILi512EdidPKPdEEvT1_T3_llPT2_llS6_lS5_lPT0_l.has_dyn_sized_stack, 0
	.set _ZN9rocsolver6v33100L18larfg_kernel_smallILi512EdidPKPdEEvT1_T3_llPT2_llS6_lS5_lPT0_l.has_recursion, 0
	.set _ZN9rocsolver6v33100L18larfg_kernel_smallILi512EdidPKPdEEvT1_T3_llPT2_llS6_lS5_lPT0_l.has_indirect_call, 0
	.section	.AMDGPU.csdata,"",@progbits
; Kernel info:
; codeLenInByte = 1524
; TotalNumSgprs: 34
; NumVgprs: 18
; NumAgprs: 0
; TotalNumVgprs: 18
; ScratchSize: 0
; MemoryBound: 0
; FloatMode: 240
; IeeeMode: 1
; LDSByteSize: 64 bytes/workgroup (compile time only)
; SGPRBlocks: 4
; VGPRBlocks: 2
; NumSGPRsForWavesPerEU: 34
; NumVGPRsForWavesPerEU: 18
; AccumOffset: 20
; Occupancy: 8
; WaveLimiterHint : 1
; COMPUTE_PGM_RSRC2:SCRATCH_EN: 0
; COMPUTE_PGM_RSRC2:USER_SGPR: 2
; COMPUTE_PGM_RSRC2:TRAP_HANDLER: 0
; COMPUTE_PGM_RSRC2:TGID_X_EN: 1
; COMPUTE_PGM_RSRC2:TGID_Y_EN: 0
; COMPUTE_PGM_RSRC2:TGID_Z_EN: 1
; COMPUTE_PGM_RSRC2:TIDIG_COMP_CNT: 0
; COMPUTE_PGM_RSRC3_GFX90A:ACCUM_OFFSET: 4
; COMPUTE_PGM_RSRC3_GFX90A:TG_SPLIT: 0
	.section	.text._ZN9rocsolver6v33100L18larfg_kernel_smallILi1024EdidPKPdEEvT1_T3_llPT2_llS6_lS5_lPT0_l,"axG",@progbits,_ZN9rocsolver6v33100L18larfg_kernel_smallILi1024EdidPKPdEEvT1_T3_llPT2_llS6_lS5_lPT0_l,comdat
	.globl	_ZN9rocsolver6v33100L18larfg_kernel_smallILi1024EdidPKPdEEvT1_T3_llPT2_llS6_lS5_lPT0_l ; -- Begin function _ZN9rocsolver6v33100L18larfg_kernel_smallILi1024EdidPKPdEEvT1_T3_llPT2_llS6_lS5_lPT0_l
	.p2align	8
	.type	_ZN9rocsolver6v33100L18larfg_kernel_smallILi1024EdidPKPdEEvT1_T3_llPT2_llS6_lS5_lPT0_l,@function
_ZN9rocsolver6v33100L18larfg_kernel_smallILi1024EdidPKPdEEvT1_T3_llPT2_llS6_lS5_lPT0_l: ; @_ZN9rocsolver6v33100L18larfg_kernel_smallILi1024EdidPKPdEEvT1_T3_llPT2_llS6_lS5_lPT0_l
; %bb.0:
	s_mov_b32 s16, s3
	s_load_dwordx4 s[12:15], s[0:1], 0x8
	s_load_dwordx8 s[4:11], s[0:1], 0x20
	s_load_dwordx2 s[2:3], s[0:1], 0x40
	s_ashr_i32 s17, s16, 31
	s_lshl_b64 s[18:19], s[16:17], 3
	s_waitcnt lgkmcnt(0)
	s_add_u32 s12, s12, s18
	s_addc_u32 s13, s13, s19
	s_add_u32 s10, s10, s18
	s_addc_u32 s11, s11, s19
	s_load_dwordx2 s[18:19], s[10:11], 0x0
	s_cmp_eq_u64 s[4:5], 0
	s_mov_b64 s[10:11], 0
	s_cbranch_scc1 .LBB9_2
; %bb.1:
	s_mul_i32 s10, s8, s17
	s_mul_hi_u32 s11, s8, s16
	s_add_i32 s10, s11, s10
	s_mul_i32 s9, s9, s16
	s_add_i32 s9, s10, s9
	s_mul_i32 s8, s8, s16
	s_lshl_b64 s[8:9], s[8:9], 3
	s_add_u32 s8, s4, s8
	s_addc_u32 s9, s5, s9
	s_lshl_b64 s[4:5], s[6:7], 3
	s_add_u32 s10, s8, s4
	s_addc_u32 s11, s9, s5
.LBB9_2:
	s_load_dwordx2 s[8:9], s[12:13], 0x0
	s_load_dword s22, s[0:1], 0x0
	s_load_dword s23, s[0:1], 0x48
	s_lshl_b64 s[2:3], s[2:3], 3
	s_waitcnt lgkmcnt(0)
	s_add_u32 s4, s18, s2
	s_addc_u32 s5, s19, s3
	s_add_i32 s22, s22, -1
	v_cmp_gt_i32_e64 s[2:3], s22, v0
	v_mov_b64_e32 v[4:5], 0
	v_mul_lo_u32 v2, v0, s23
	s_and_saveexec_b64 s[6:7], s[2:3]
	s_cbranch_execz .LBB9_6
; %bb.3:
	v_mul_lo_u32 v6, v0, s23
	s_lshl_b32 s18, s23, 10
	v_mov_b64_e32 v[4:5], 0
	s_mov_b64 s[12:13], 0
	v_mov_b32_e32 v1, v0
.LBB9_4:                                ; =>This Inner Loop Header: Depth=1
	v_ashrrev_i32_e32 v7, 31, v6
	v_lshl_add_u64 v[8:9], v[6:7], 3, s[4:5]
	flat_load_dwordx2 v[8:9], v[8:9]
	v_add_u32_e32 v1, 0x400, v1
	v_cmp_le_i32_e32 vcc, s22, v1
	s_or_b64 s[12:13], vcc, s[12:13]
	v_add_u32_e32 v6, s18, v6
	s_waitcnt vmcnt(0) lgkmcnt(0)
	v_fmac_f64_e32 v[4:5], v[8:9], v[8:9]
	s_andn2_b64 exec, exec, s[12:13]
	s_cbranch_execnz .LBB9_4
; %bb.5:
	s_or_b64 exec, exec, s[12:13]
.LBB9_6:
	s_or_b64 exec, exec, s[6:7]
	v_mbcnt_lo_u32_b32 v1, -1, 0
	v_mbcnt_hi_u32_b32 v1, -1, v1
	v_and_b32_e32 v3, 63, v1
	v_cmp_ne_u32_e32 vcc, 63, v3
	s_nop 1
	v_addc_co_u32_e32 v6, vcc, 0, v1, vcc
	v_lshlrev_b32_e32 v7, 2, v6
	ds_bpermute_b32 v6, v7, v4
	ds_bpermute_b32 v7, v7, v5
	v_cmp_gt_u32_e32 vcc, 62, v3
	s_waitcnt lgkmcnt(0)
	v_add_f64 v[4:5], v[4:5], v[6:7]
	v_cndmask_b32_e64 v6, 0, 2, vcc
	v_add_lshl_u32 v7, v6, v1, 2
	ds_bpermute_b32 v6, v7, v4
	ds_bpermute_b32 v7, v7, v5
	v_cmp_gt_u32_e32 vcc, 60, v3
	s_waitcnt lgkmcnt(0)
	v_add_f64 v[4:5], v[4:5], v[6:7]
	v_cndmask_b32_e64 v6, 0, 4, vcc
	v_add_lshl_u32 v7, v6, v1, 2
	;; [unrolled: 7-line block ×4, first 2 shown]
	ds_bpermute_b32 v6, v3, v4
	ds_bpermute_b32 v7, v3, v5
	v_mov_b32_e32 v3, 0x80
	v_lshl_or_b32 v1, v1, 2, v3
	s_waitcnt lgkmcnt(0)
	v_add_f64 v[4:5], v[4:5], v[6:7]
	ds_bpermute_b32 v6, v1, v4
	ds_bpermute_b32 v7, v1, v5
	v_and_b32_e32 v1, 63, v0
	v_cmp_eq_u32_e32 vcc, 0, v1
	s_waitcnt lgkmcnt(0)
	v_add_f64 v[4:5], v[4:5], v[6:7]
	s_and_saveexec_b64 s[6:7], vcc
; %bb.7:
	v_lshrrev_b32_e32 v1, 3, v0
	ds_write_b64 v1, v[4:5]
; %bb.8:
	s_or_b64 exec, exec, s[6:7]
	v_cmp_eq_u32_e32 vcc, 0, v0
	s_waitcnt lgkmcnt(0)
	s_barrier
	s_and_saveexec_b64 s[6:7], vcc
	s_cbranch_execz .LBB9_10
; %bb.9:
	v_mov_b32_e32 v1, 0
	ds_read2_b64 v[6:9], v1 offset0:1 offset1:2
	ds_read2_b64 v[10:13], v1 offset0:3 offset1:4
	;; [unrolled: 1-line block ×5, first 2 shown]
	s_waitcnt lgkmcnt(4)
	v_add_f64 v[4:5], v[4:5], v[6:7]
	v_add_f64 v[4:5], v[4:5], v[8:9]
	s_waitcnt lgkmcnt(3)
	v_add_f64 v[4:5], v[4:5], v[10:11]
	v_add_f64 v[4:5], v[4:5], v[12:13]
	;; [unrolled: 3-line block ×4, first 2 shown]
	ds_read2_b64 v[4:7], v1 offset0:11 offset1:12
	s_waitcnt lgkmcnt(1)
	v_add_f64 v[12:13], v[8:9], v[22:23]
	ds_read2_b64 v[8:11], v1 offset0:13 offset1:14
	v_add_f64 v[12:13], v[12:13], v[24:25]
	ds_read_b64 v[14:15], v1 offset:120
	s_waitcnt lgkmcnt(2)
	v_add_f64 v[4:5], v[12:13], v[4:5]
	v_add_f64 v[4:5], v[4:5], v[6:7]
	s_waitcnt lgkmcnt(1)
	v_add_f64 v[4:5], v[4:5], v[8:9]
	v_add_f64 v[4:5], v[4:5], v[10:11]
	s_waitcnt lgkmcnt(0)
	v_add_f64 v[4:5], v[4:5], v[14:15]
	ds_write_b64 v1, v[4:5]
.LBB9_10:
	s_or_b64 exec, exec, s[6:7]
	s_waitcnt lgkmcnt(0)
	s_barrier
	s_and_saveexec_b64 s[6:7], vcc
	s_cbranch_execz .LBB9_17
; %bb.11:
	s_load_dwordx4 s[24:27], s[0:1], 0x58
	s_lshl_b64 s[0:1], s[14:15], 3
	s_add_u32 s0, s8, s0
	s_addc_u32 s1, s9, s1
	v_mov_b32_e32 v4, 0
	s_waitcnt lgkmcnt(0)
	s_mul_i32 s8, s26, s17
	s_mul_hi_u32 s9, s26, s16
	s_add_i32 s8, s9, s8
	s_mul_i32 s9, s27, s16
	s_add_i32 s9, s8, s9
	s_mul_i32 s8, s26, s16
	ds_read_b64 v[6:7], v4
	s_lshl_b64 s[8:9], s[8:9], 3
	s_add_u32 s8, s24, s8
	s_addc_u32 s9, s25, s9
	s_cmp_eq_u64 s[10:11], 0
	s_cselect_b64 s[14:15], -1, 0
	s_cmp_lg_u64 s[10:11], 0
	s_waitcnt lgkmcnt(0)
	v_cmp_nlt_f64_e32 vcc, 0, v[6:7]
	s_mov_b64 s[16:17], 0
	s_cselect_b64 s[12:13], -1, 0
	s_cbranch_vccz .LBB9_21
; %bb.12:
	v_mov_b32_e32 v5, 0x3ff00000
	ds_write_b64 v4, v[4:5]
	v_mov_b32_e32 v5, v4
	s_mov_b64 s[20:21], 0
	s_and_b64 vcc, exec, s[12:13]
	s_mov_b64 s[18:19], 0
	global_store_dwordx2 v4, v[4:5], s[8:9]
                                        ; implicit-def: $vgpr4_vgpr5
	s_cbranch_vccnz .LBB9_22
; %bb.13:
	s_and_b64 vcc, exec, s[20:21]
	s_cbranch_vccnz .LBB9_23
.LBB9_14:
	s_andn2_b64 vcc, exec, s[18:19]
	s_cbranch_vccz .LBB9_24
.LBB9_15:
	s_andn2_b64 vcc, exec, s[16:17]
	s_cbranch_vccnz .LBB9_17
.LBB9_16:
	v_mov_b64_e32 v[6:7], s[0:1]
	s_waitcnt vmcnt(0) lgkmcnt(0)
	flat_store_dwordx2 v[6:7], v[4:5]
.LBB9_17:
	s_or_b64 exec, exec, s[6:7]
	s_waitcnt lgkmcnt(0)
	s_barrier
	s_and_saveexec_b64 s[0:1], s[2:3]
	s_cbranch_execz .LBB9_20
; %bb.18:
	v_mov_b32_e32 v1, 0
	s_waitcnt vmcnt(0)
	ds_read_b64 v[4:5], v1
	s_lshl_b32 s2, s23, 10
	s_mov_b64 s[0:1], 0
.LBB9_19:                               ; =>This Inner Loop Header: Depth=1
	v_ashrrev_i32_e32 v3, 31, v2
	v_lshl_add_u64 v[6:7], v[2:3], 3, s[4:5]
	flat_load_dwordx2 v[8:9], v[6:7]
	v_add_u32_e32 v0, 0x400, v0
	v_cmp_le_i32_e32 vcc, s22, v0
	s_or_b64 s[0:1], vcc, s[0:1]
	v_add_u32_e32 v2, s2, v2
	s_waitcnt vmcnt(0) lgkmcnt(0)
	v_mul_f64 v[8:9], v[4:5], v[8:9]
	flat_store_dwordx2 v[6:7], v[8:9]
	s_andn2_b64 exec, exec, s[0:1]
	s_cbranch_execnz .LBB9_19
.LBB9_20:
	s_endpgm
.LBB9_21:
                                        ; implicit-def: $vgpr4_vgpr5
	s_mov_b64 s[18:19], 0
	s_cbranch_execz .LBB9_14
	s_branch .LBB9_23
.LBB9_22:
	v_mov_b64_e32 v[4:5], s[0:1]
	flat_load_dwordx2 v[4:5], v[4:5]
	s_mov_b64 s[18:19], -1
	s_and_b64 vcc, exec, s[20:21]
	s_cbranch_vccz .LBB9_14
.LBB9_23:
	v_mov_b64_e32 v[8:9], s[0:1]
	flat_load_dwordx2 v[10:11], v[8:9]
	s_mov_b32 s16, 0
	s_brev_b32 s17, 8
	v_mov_b32_e32 v1, 0x100
	v_mov_b32_e32 v3, 0x260
	s_mov_b64 s[18:19], s[12:13]
	s_waitcnt vmcnt(0) lgkmcnt(0)
	v_fmac_f64_e32 v[6:7], v[10:11], v[10:11]
	v_cmp_gt_f64_e32 vcc, s[16:17], v[6:7]
	s_nop 1
	v_cndmask_b32_e32 v1, 0, v1, vcc
	v_ldexp_f64 v[4:5], v[6:7], v1
	v_rsq_f64_e32 v[6:7], v[4:5]
	v_mov_b32_e32 v1, 0xffffff80
	v_cndmask_b32_e32 v1, 0, v1, vcc
	v_cmp_class_f64_e32 vcc, v[4:5], v3
	v_mul_f64 v[12:13], v[4:5], v[6:7]
	v_mul_f64 v[6:7], v[6:7], 0.5
	v_fma_f64 v[14:15], -v[6:7], v[12:13], 0.5
	v_fmac_f64_e32 v[12:13], v[12:13], v[14:15]
	v_fmac_f64_e32 v[6:7], v[6:7], v[14:15]
	v_fma_f64 v[14:15], -v[12:13], v[12:13], v[4:5]
	v_fmac_f64_e32 v[12:13], v[14:15], v[6:7]
	v_fma_f64 v[14:15], -v[12:13], v[12:13], v[4:5]
	v_fmac_f64_e32 v[12:13], v[14:15], v[6:7]
	v_ldexp_f64 v[6:7], v[12:13], v1
	v_cndmask_b32_e32 v1, v7, v5, vcc
	v_cndmask_b32_e32 v4, v6, v4, vcc
	v_xor_b32_e32 v3, 0x80000000, v1
	v_cmp_le_f64_e32 vcc, 0, v[10:11]
	s_nop 1
	v_cndmask_b32_e32 v5, v1, v3, vcc
	v_add_f64 v[6:7], v[10:11], -v[4:5]
	v_div_scale_f64 v[10:11], s[16:17], v[6:7], v[6:7], 1.0
	v_rcp_f64_e32 v[12:13], v[10:11]
	v_div_scale_f64 v[14:15], vcc, 1.0, v[6:7], 1.0
	v_mov_b32_e32 v1, 0
	v_fma_f64 v[16:17], -v[10:11], v[12:13], 1.0
	v_fmac_f64_e32 v[12:13], v[12:13], v[16:17]
	v_fma_f64 v[16:17], -v[10:11], v[12:13], 1.0
	v_fmac_f64_e32 v[12:13], v[12:13], v[16:17]
	v_mul_f64 v[16:17], v[14:15], v[12:13]
	v_fma_f64 v[10:11], -v[10:11], v[16:17], v[14:15]
	v_div_fmas_f64 v[10:11], v[10:11], v[12:13], v[16:17]
	v_div_fixup_f64 v[6:7], v[10:11], v[6:7], 1.0
	ds_write_b64 v1, v[6:7]
	flat_load_dwordx2 v[6:7], v[8:9]
	s_waitcnt vmcnt(0) lgkmcnt(0)
	v_add_f64 v[6:7], v[4:5], -v[6:7]
	v_div_scale_f64 v[8:9], s[16:17], v[4:5], v[4:5], v[6:7]
	v_rcp_f64_e32 v[10:11], v[8:9]
	v_div_scale_f64 v[12:13], vcc, v[6:7], v[4:5], v[6:7]
	s_mov_b64 s[16:17], s[14:15]
	v_fma_f64 v[14:15], -v[8:9], v[10:11], 1.0
	v_fmac_f64_e32 v[10:11], v[10:11], v[14:15]
	v_fma_f64 v[14:15], -v[8:9], v[10:11], 1.0
	v_fmac_f64_e32 v[10:11], v[10:11], v[14:15]
	v_mul_f64 v[14:15], v[12:13], v[10:11]
	v_fma_f64 v[8:9], -v[8:9], v[14:15], v[12:13]
	v_div_fmas_f64 v[8:9], v[8:9], v[10:11], v[14:15]
	v_div_fixup_f64 v[6:7], v[8:9], v[4:5], v[6:7]
	global_store_dwordx2 v1, v[6:7], s[8:9]
	s_andn2_b64 vcc, exec, s[18:19]
	s_cbranch_vccnz .LBB9_15
.LBB9_24:
	v_mov_b32_e32 v1, 0
	s_waitcnt vmcnt(0) lgkmcnt(0)
	global_store_dwordx2 v1, v[4:5], s[10:11]
	v_mov_b64_e32 v[4:5], 1.0
	s_branch .LBB9_16
	.section	.rodata,"a",@progbits
	.p2align	6, 0x0
	.amdhsa_kernel _ZN9rocsolver6v33100L18larfg_kernel_smallILi1024EdidPKPdEEvT1_T3_llPT2_llS6_lS5_lPT0_l
		.amdhsa_group_segment_fixed_size 128
		.amdhsa_private_segment_fixed_size 0
		.amdhsa_kernarg_size 104
		.amdhsa_user_sgpr_count 2
		.amdhsa_user_sgpr_dispatch_ptr 0
		.amdhsa_user_sgpr_queue_ptr 0
		.amdhsa_user_sgpr_kernarg_segment_ptr 1
		.amdhsa_user_sgpr_dispatch_id 0
		.amdhsa_user_sgpr_kernarg_preload_length 0
		.amdhsa_user_sgpr_kernarg_preload_offset 0
		.amdhsa_user_sgpr_private_segment_size 0
		.amdhsa_uses_dynamic_stack 0
		.amdhsa_enable_private_segment 0
		.amdhsa_system_sgpr_workgroup_id_x 1
		.amdhsa_system_sgpr_workgroup_id_y 0
		.amdhsa_system_sgpr_workgroup_id_z 1
		.amdhsa_system_sgpr_workgroup_info 0
		.amdhsa_system_vgpr_workitem_id 0
		.amdhsa_next_free_vgpr 26
		.amdhsa_next_free_sgpr 28
		.amdhsa_accum_offset 28
		.amdhsa_reserve_vcc 1
		.amdhsa_float_round_mode_32 0
		.amdhsa_float_round_mode_16_64 0
		.amdhsa_float_denorm_mode_32 3
		.amdhsa_float_denorm_mode_16_64 3
		.amdhsa_dx10_clamp 1
		.amdhsa_ieee_mode 1
		.amdhsa_fp16_overflow 0
		.amdhsa_tg_split 0
		.amdhsa_exception_fp_ieee_invalid_op 0
		.amdhsa_exception_fp_denorm_src 0
		.amdhsa_exception_fp_ieee_div_zero 0
		.amdhsa_exception_fp_ieee_overflow 0
		.amdhsa_exception_fp_ieee_underflow 0
		.amdhsa_exception_fp_ieee_inexact 0
		.amdhsa_exception_int_div_zero 0
	.end_amdhsa_kernel
	.section	.text._ZN9rocsolver6v33100L18larfg_kernel_smallILi1024EdidPKPdEEvT1_T3_llPT2_llS6_lS5_lPT0_l,"axG",@progbits,_ZN9rocsolver6v33100L18larfg_kernel_smallILi1024EdidPKPdEEvT1_T3_llPT2_llS6_lS5_lPT0_l,comdat
.Lfunc_end9:
	.size	_ZN9rocsolver6v33100L18larfg_kernel_smallILi1024EdidPKPdEEvT1_T3_llPT2_llS6_lS5_lPT0_l, .Lfunc_end9-_ZN9rocsolver6v33100L18larfg_kernel_smallILi1024EdidPKPdEEvT1_T3_llPT2_llS6_lS5_lPT0_l
                                        ; -- End function
	.set _ZN9rocsolver6v33100L18larfg_kernel_smallILi1024EdidPKPdEEvT1_T3_llPT2_llS6_lS5_lPT0_l.num_vgpr, 26
	.set _ZN9rocsolver6v33100L18larfg_kernel_smallILi1024EdidPKPdEEvT1_T3_llPT2_llS6_lS5_lPT0_l.num_agpr, 0
	.set _ZN9rocsolver6v33100L18larfg_kernel_smallILi1024EdidPKPdEEvT1_T3_llPT2_llS6_lS5_lPT0_l.numbered_sgpr, 28
	.set _ZN9rocsolver6v33100L18larfg_kernel_smallILi1024EdidPKPdEEvT1_T3_llPT2_llS6_lS5_lPT0_l.num_named_barrier, 0
	.set _ZN9rocsolver6v33100L18larfg_kernel_smallILi1024EdidPKPdEEvT1_T3_llPT2_llS6_lS5_lPT0_l.private_seg_size, 0
	.set _ZN9rocsolver6v33100L18larfg_kernel_smallILi1024EdidPKPdEEvT1_T3_llPT2_llS6_lS5_lPT0_l.uses_vcc, 1
	.set _ZN9rocsolver6v33100L18larfg_kernel_smallILi1024EdidPKPdEEvT1_T3_llPT2_llS6_lS5_lPT0_l.uses_flat_scratch, 0
	.set _ZN9rocsolver6v33100L18larfg_kernel_smallILi1024EdidPKPdEEvT1_T3_llPT2_llS6_lS5_lPT0_l.has_dyn_sized_stack, 0
	.set _ZN9rocsolver6v33100L18larfg_kernel_smallILi1024EdidPKPdEEvT1_T3_llPT2_llS6_lS5_lPT0_l.has_recursion, 0
	.set _ZN9rocsolver6v33100L18larfg_kernel_smallILi1024EdidPKPdEEvT1_T3_llPT2_llS6_lS5_lPT0_l.has_indirect_call, 0
	.section	.AMDGPU.csdata,"",@progbits
; Kernel info:
; codeLenInByte = 1636
; TotalNumSgprs: 34
; NumVgprs: 26
; NumAgprs: 0
; TotalNumVgprs: 26
; ScratchSize: 0
; MemoryBound: 0
; FloatMode: 240
; IeeeMode: 1
; LDSByteSize: 128 bytes/workgroup (compile time only)
; SGPRBlocks: 4
; VGPRBlocks: 3
; NumSGPRsForWavesPerEU: 34
; NumVGPRsForWavesPerEU: 26
; AccumOffset: 28
; Occupancy: 8
; WaveLimiterHint : 1
; COMPUTE_PGM_RSRC2:SCRATCH_EN: 0
; COMPUTE_PGM_RSRC2:USER_SGPR: 2
; COMPUTE_PGM_RSRC2:TRAP_HANDLER: 0
; COMPUTE_PGM_RSRC2:TGID_X_EN: 1
; COMPUTE_PGM_RSRC2:TGID_Y_EN: 0
; COMPUTE_PGM_RSRC2:TGID_Z_EN: 1
; COMPUTE_PGM_RSRC2:TIDIG_COMP_CNT: 0
; COMPUTE_PGM_RSRC3_GFX90A:ACCUM_OFFSET: 6
; COMPUTE_PGM_RSRC3_GFX90A:TG_SPLIT: 0
	.section	.text._ZN9rocsolver6v33100L18larfg_kernel_smallILi64EdldPdEEvT1_T3_llPT2_llS4_lS3_lPT0_l,"axG",@progbits,_ZN9rocsolver6v33100L18larfg_kernel_smallILi64EdldPdEEvT1_T3_llPT2_llS4_lS3_lPT0_l,comdat
	.globl	_ZN9rocsolver6v33100L18larfg_kernel_smallILi64EdldPdEEvT1_T3_llPT2_llS4_lS3_lPT0_l ; -- Begin function _ZN9rocsolver6v33100L18larfg_kernel_smallILi64EdldPdEEvT1_T3_llPT2_llS4_lS3_lPT0_l
	.p2align	8
	.type	_ZN9rocsolver6v33100L18larfg_kernel_smallILi64EdldPdEEvT1_T3_llPT2_llS4_lS3_lPT0_l,@function
_ZN9rocsolver6v33100L18larfg_kernel_smallILi64EdldPdEEvT1_T3_llPT2_llS4_lS3_lPT0_l: ; @_ZN9rocsolver6v33100L18larfg_kernel_smallILi64EdldPdEEvT1_T3_llPT2_llS4_lS3_lPT0_l
; %bb.0:
	s_load_dwordx16 s[4:19], s[0:1], 0x0
	s_mov_b64 s[28:29], 0
	s_waitcnt lgkmcnt(0)
	s_cmp_eq_u64 s[12:13], 0
	s_cbranch_scc1 .LBB10_2
; %bb.1:
	s_mul_i32 s2, s17, s3
	s_mul_hi_u32 s17, s16, s3
	s_add_i32 s17, s17, s2
	s_mul_i32 s16, s16, s3
	s_lshl_b64 s[16:17], s[16:17], 3
	s_add_u32 s2, s12, s16
	s_addc_u32 s16, s13, s17
	s_lshl_b64 s[12:13], s[14:15], 3
	s_add_u32 s28, s2, s12
	s_addc_u32 s29, s16, s13
.LBB10_2:
	s_load_dwordx8 s[20:27], s[0:1], 0x40
	s_load_dwordx2 s[16:17], s[0:1], 0x60
	s_add_u32 s4, s4, -1
	v_mov_b32_e32 v1, 0
	s_addc_u32 s5, s5, -1
	v_cmp_gt_i64_e64 s[0:1], s[4:5], v[0:1]
	v_mov_b64_e32 v[2:3], 0
	s_waitcnt lgkmcnt(0)
	s_mul_i32 s33, s25, s3
	s_mul_hi_u32 s34, s24, s3
	s_mul_i32 s12, s24, s3
	s_and_saveexec_b64 s[14:15], s[0:1]
	s_cbranch_execz .LBB10_6
; %bb.3:
	v_mad_u64_u32 v[2:3], s[30:31], s22, v0, 0
	v_mov_b32_e32 v4, v3
	s_add_i32 s13, s34, s33
	v_mad_u64_u32 v[4:5], s[30:31], s23, v0, v[4:5]
	s_lshl_b64 s[24:25], s[12:13], 3
	s_lshl_b64 s[30:31], s[20:21], 3
	s_add_u32 s2, s18, s30
	s_addc_u32 s13, s19, s31
	s_add_u32 s24, s2, s24
	v_mov_b32_e32 v3, v4
	s_addc_u32 s25, s13, s25
	v_lshl_add_u64 v[4:5], v[2:3], 3, s[24:25]
	s_lshl_b64 s[24:25], s[22:23], 9
	v_mov_b64_e32 v[2:3], 0
	s_mov_b64 s[30:31], 0
	v_mov_b64_e32 v[6:7], v[0:1]
.LBB10_4:                               ; =>This Inner Loop Header: Depth=1
	global_load_dwordx2 v[8:9], v[4:5], off
	v_lshl_add_u64 v[6:7], v[6:7], 0, 64
	v_cmp_le_i64_e32 vcc, s[4:5], v[6:7]
	v_lshl_add_u64 v[4:5], v[4:5], 0, s[24:25]
	s_or_b64 s[30:31], vcc, s[30:31]
	s_waitcnt vmcnt(0)
	v_fmac_f64_e32 v[2:3], v[8:9], v[8:9]
	s_andn2_b64 exec, exec, s[30:31]
	s_cbranch_execnz .LBB10_4
; %bb.5:
	s_or_b64 exec, exec, s[30:31]
.LBB10_6:
	s_or_b64 exec, exec, s[14:15]
	v_mbcnt_lo_u32_b32 v4, -1, 0
	v_mbcnt_hi_u32_b32 v6, -1, v4
	v_and_b32_e32 v7, 63, v6
	v_cmp_ne_u32_e32 vcc, 63, v7
	s_nop 1
	v_addc_co_u32_e32 v4, vcc, 0, v6, vcc
	v_lshlrev_b32_e32 v5, 2, v4
	ds_bpermute_b32 v4, v5, v2
	ds_bpermute_b32 v5, v5, v3
	v_cmp_gt_u32_e32 vcc, 62, v7
	s_waitcnt lgkmcnt(0)
	v_add_f64 v[2:3], v[2:3], v[4:5]
	v_cndmask_b32_e64 v4, 0, 2, vcc
	v_add_lshl_u32 v5, v4, v6, 2
	ds_bpermute_b32 v4, v5, v2
	ds_bpermute_b32 v5, v5, v3
	v_cmp_gt_u32_e32 vcc, 60, v7
	s_waitcnt lgkmcnt(0)
	v_add_f64 v[2:3], v[2:3], v[4:5]
	v_cndmask_b32_e64 v4, 0, 4, vcc
	v_add_lshl_u32 v5, v4, v6, 2
	;; [unrolled: 7-line block ×3, first 2 shown]
	ds_bpermute_b32 v4, v5, v2
	ds_bpermute_b32 v5, v5, v3
	v_cmp_gt_u32_e32 vcc, 48, v7
	v_mov_b32_e32 v7, 0x80
	s_waitcnt lgkmcnt(0)
	v_add_f64 v[2:3], v[2:3], v[4:5]
	v_cndmask_b32_e64 v4, 0, 16, vcc
	v_add_lshl_u32 v5, v4, v6, 2
	ds_bpermute_b32 v4, v5, v2
	ds_bpermute_b32 v5, v5, v3
	v_cmp_eq_u32_e32 vcc, 0, v0
	s_waitcnt lgkmcnt(0)
	v_add_f64 v[2:3], v[2:3], v[4:5]
	v_lshl_or_b32 v5, v6, 2, v7
	ds_bpermute_b32 v4, v5, v2
	ds_bpermute_b32 v5, v5, v3
	s_waitcnt lgkmcnt(0)
	v_add_f64 v[2:3], v[2:3], v[4:5]
	s_and_saveexec_b64 s[14:15], vcc
; %bb.7:
	v_lshrrev_b32_e32 v4, 3, v0
	ds_write_b64 v4, v[2:3]
; %bb.8:
	s_or_b64 exec, exec, s[14:15]
	v_cmp_eq_u32_e32 vcc, 0, v0
	s_waitcnt lgkmcnt(0)
	; wave barrier
	s_and_saveexec_b64 s[14:15], vcc
; %bb.9:
	v_mov_b32_e32 v4, 0
	ds_write_b64 v4, v[2:3]
; %bb.10:
	s_or_b64 exec, exec, s[14:15]
	s_waitcnt lgkmcnt(0)
	; wave barrier
	s_and_saveexec_b64 s[14:15], vcc
	s_cbranch_execz .LBB10_20
; %bb.11:
	s_mul_i32 s2, s11, s3
	s_mul_hi_u32 s11, s10, s3
	s_add_i32 s11, s11, s2
	s_mul_i32 s10, s10, s3
	s_lshl_b64 s[10:11], s[10:11], 3
	s_add_u32 s2, s6, s10
	s_addc_u32 s10, s7, s11
	s_lshl_b64 s[6:7], s[8:9], 3
	s_add_u32 s6, s2, s6
	s_mul_i32 s2, s17, s3
	s_mul_hi_u32 s8, s16, s3
	v_mov_b32_e32 v2, 0
	s_addc_u32 s7, s10, s7
	s_add_i32 s9, s8, s2
	s_mul_i32 s8, s16, s3
	ds_read_b64 v[4:5], v2
	s_lshl_b64 s[2:3], s[8:9], 3
	s_add_u32 s8, s26, s2
	s_addc_u32 s9, s27, s3
	s_cmp_eq_u64 s[28:29], 0
	s_cselect_b64 s[2:3], -1, 0
	s_cmp_lg_u64 s[28:29], 0
	s_waitcnt lgkmcnt(0)
	v_cmp_nlt_f64_e32 vcc, 0, v[4:5]
	s_mov_b64 s[16:17], 0
	s_cselect_b64 s[10:11], -1, 0
	s_cbranch_vccz .LBB10_14
; %bb.12:
	v_mov_b32_e32 v3, 0x3ff00000
	ds_write_b64 v2, v[2:3]
	v_mov_b32_e32 v3, v2
	s_mov_b64 s[26:27], 0
	s_and_b64 vcc, exec, s[10:11]
	global_store_dwordx2 v2, v[2:3], s[8:9]
	s_cbranch_vccz .LBB10_15
; %bb.13:
	v_mov_b32_e32 v2, 0
	global_load_dwordx2 v[2:3], v2, s[6:7]
	s_mov_b64 s[24:25], -1
	s_and_b64 vcc, exec, s[26:27]
	s_cbranch_vccnz .LBB10_16
	s_branch .LBB10_17
.LBB10_14:
	s_mov_b64 s[26:27], -1
.LBB10_15:
	s_mov_b64 s[24:25], 0
                                        ; implicit-def: $vgpr2_vgpr3
	s_and_b64 vcc, exec, s[26:27]
	s_cbranch_vccz .LBB10_17
.LBB10_16:
	v_mov_b32_e32 v24, 0
	global_load_dwordx2 v[6:7], v24, s[6:7]
	s_mov_b32 s16, 0
	s_brev_b32 s17, 8
	v_mov_b32_e32 v12, 0x260
	s_mov_b64 s[24:25], s[10:11]
	s_waitcnt vmcnt(0)
	v_fmac_f64_e32 v[4:5], v[6:7], v[6:7]
	v_cmp_gt_f64_e32 vcc, s[16:17], v[4:5]
	s_and_b64 s[16:17], vcc, exec
	s_cselect_b32 s13, 0x100, 0
	v_ldexp_f64 v[2:3], v[4:5], s13
	v_rsq_f64_e32 v[4:5], v[2:3]
	s_mov_b64 s[16:17], s[2:3]
	s_cselect_b32 s2, 0xffffff80, 0
	v_cmp_class_f64_e32 vcc, v[2:3], v12
	v_mul_f64 v[8:9], v[2:3], v[4:5]
	v_mul_f64 v[4:5], v[4:5], 0.5
	v_fma_f64 v[10:11], -v[4:5], v[8:9], 0.5
	v_fmac_f64_e32 v[8:9], v[8:9], v[10:11]
	v_fmac_f64_e32 v[4:5], v[4:5], v[10:11]
	v_fma_f64 v[10:11], -v[8:9], v[8:9], v[2:3]
	v_fmac_f64_e32 v[8:9], v[10:11], v[4:5]
	v_fma_f64 v[10:11], -v[8:9], v[8:9], v[2:3]
	v_fmac_f64_e32 v[8:9], v[10:11], v[4:5]
	v_ldexp_f64 v[4:5], v[8:9], s2
	v_cndmask_b32_e32 v3, v5, v3, vcc
	v_cndmask_b32_e32 v2, v4, v2, vcc
	v_xor_b32_e32 v4, 0x80000000, v3
	v_cmp_le_f64_e32 vcc, 0, v[6:7]
	s_nop 1
	v_cndmask_b32_e32 v3, v3, v4, vcc
	v_add_f64 v[4:5], v[6:7], -v[2:3]
	v_add_f64 v[6:7], v[2:3], -v[6:7]
	v_div_scale_f64 v[8:9], s[2:3], v[4:5], v[4:5], 1.0
	v_div_scale_f64 v[12:13], s[2:3], v[2:3], v[2:3], v[6:7]
	v_rcp_f64_e32 v[14:15], v[8:9]
	v_rcp_f64_e32 v[16:17], v[12:13]
	v_div_scale_f64 v[10:11], vcc, 1.0, v[4:5], 1.0
	v_fma_f64 v[20:21], -v[8:9], v[14:15], 1.0
	v_fma_f64 v[22:23], -v[12:13], v[16:17], 1.0
	v_fmac_f64_e32 v[14:15], v[14:15], v[20:21]
	v_fmac_f64_e32 v[16:17], v[16:17], v[22:23]
	v_fma_f64 v[20:21], -v[8:9], v[14:15], 1.0
	v_fma_f64 v[22:23], -v[12:13], v[16:17], 1.0
	v_fmac_f64_e32 v[14:15], v[14:15], v[20:21]
	v_div_scale_f64 v[18:19], s[2:3], v[6:7], v[2:3], v[6:7]
	v_fmac_f64_e32 v[16:17], v[16:17], v[22:23]
	v_mul_f64 v[20:21], v[10:11], v[14:15]
	v_mul_f64 v[22:23], v[18:19], v[16:17]
	v_fma_f64 v[8:9], -v[8:9], v[20:21], v[10:11]
	v_fma_f64 v[10:11], -v[12:13], v[22:23], v[18:19]
	v_div_fmas_f64 v[8:9], v[8:9], v[14:15], v[20:21]
	s_mov_b64 vcc, s[2:3]
	v_div_fixup_f64 v[4:5], v[8:9], v[4:5], 1.0
	v_div_fmas_f64 v[8:9], v[10:11], v[16:17], v[22:23]
	ds_write_b64 v24, v[4:5]
	v_div_fixup_f64 v[4:5], v[8:9], v[2:3], v[6:7]
	global_store_dwordx2 v24, v[4:5], s[8:9]
.LBB10_17:
	s_andn2_b64 vcc, exec, s[24:25]
	s_cbranch_vccz .LBB10_24
; %bb.18:
	s_andn2_b64 vcc, exec, s[16:17]
	s_cbranch_vccnz .LBB10_20
.LBB10_19:
	v_mov_b32_e32 v4, 0
	s_waitcnt vmcnt(0)
	global_store_dwordx2 v4, v[2:3], s[6:7]
.LBB10_20:
	s_or_b64 exec, exec, s[14:15]
	s_waitcnt lgkmcnt(0)
	; wave barrier
	s_and_saveexec_b64 s[2:3], s[0:1]
	s_cbranch_execz .LBB10_23
; %bb.21:
	v_mad_u64_u32 v[4:5], s[2:3], s22, v0, 0
	v_mov_b32_e32 v6, v5
	s_add_i32 s13, s34, s33
	v_mad_u64_u32 v[6:7], s[2:3], s23, v0, v[6:7]
	s_waitcnt vmcnt(0)
	v_mov_b32_e32 v2, 0
	s_lshl_b64 s[0:1], s[12:13], 3
	s_lshl_b64 s[2:3], s[20:21], 3
	ds_read_b64 v[2:3], v2
	s_add_u32 s2, s18, s2
	s_addc_u32 s3, s19, s3
	s_add_u32 s0, s2, s0
	v_mov_b32_e32 v5, v6
	s_addc_u32 s1, s3, s1
	v_lshl_add_u64 v[4:5], v[4:5], 3, s[0:1]
	s_lshl_b64 s[0:1], s[22:23], 9
	s_mov_b64 s[2:3], 0
.LBB10_22:                              ; =>This Inner Loop Header: Depth=1
	global_load_dwordx2 v[6:7], v[4:5], off
	v_lshl_add_u64 v[0:1], v[0:1], 0, 64
	v_cmp_le_i64_e32 vcc, s[4:5], v[0:1]
	s_or_b64 s[2:3], vcc, s[2:3]
	s_waitcnt vmcnt(0) lgkmcnt(0)
	v_mul_f64 v[6:7], v[2:3], v[6:7]
	global_store_dwordx2 v[4:5], v[6:7], off
	v_lshl_add_u64 v[4:5], v[4:5], 0, s[0:1]
	s_andn2_b64 exec, exec, s[2:3]
	s_cbranch_execnz .LBB10_22
.LBB10_23:
	s_endpgm
.LBB10_24:
	v_mov_b32_e32 v4, 0
	s_waitcnt vmcnt(0)
	global_store_dwordx2 v4, v[2:3], s[28:29]
	v_mov_b64_e32 v[2:3], 1.0
	s_branch .LBB10_19
	.section	.rodata,"a",@progbits
	.p2align	6, 0x0
	.amdhsa_kernel _ZN9rocsolver6v33100L18larfg_kernel_smallILi64EdldPdEEvT1_T3_llPT2_llS4_lS3_lPT0_l
		.amdhsa_group_segment_fixed_size 8
		.amdhsa_private_segment_fixed_size 0
		.amdhsa_kernarg_size 104
		.amdhsa_user_sgpr_count 2
		.amdhsa_user_sgpr_dispatch_ptr 0
		.amdhsa_user_sgpr_queue_ptr 0
		.amdhsa_user_sgpr_kernarg_segment_ptr 1
		.amdhsa_user_sgpr_dispatch_id 0
		.amdhsa_user_sgpr_kernarg_preload_length 0
		.amdhsa_user_sgpr_kernarg_preload_offset 0
		.amdhsa_user_sgpr_private_segment_size 0
		.amdhsa_uses_dynamic_stack 0
		.amdhsa_enable_private_segment 0
		.amdhsa_system_sgpr_workgroup_id_x 1
		.amdhsa_system_sgpr_workgroup_id_y 0
		.amdhsa_system_sgpr_workgroup_id_z 1
		.amdhsa_system_sgpr_workgroup_info 0
		.amdhsa_system_vgpr_workitem_id 0
		.amdhsa_next_free_vgpr 25
		.amdhsa_next_free_sgpr 35
		.amdhsa_accum_offset 28
		.amdhsa_reserve_vcc 1
		.amdhsa_float_round_mode_32 0
		.amdhsa_float_round_mode_16_64 0
		.amdhsa_float_denorm_mode_32 3
		.amdhsa_float_denorm_mode_16_64 3
		.amdhsa_dx10_clamp 1
		.amdhsa_ieee_mode 1
		.amdhsa_fp16_overflow 0
		.amdhsa_tg_split 0
		.amdhsa_exception_fp_ieee_invalid_op 0
		.amdhsa_exception_fp_denorm_src 0
		.amdhsa_exception_fp_ieee_div_zero 0
		.amdhsa_exception_fp_ieee_overflow 0
		.amdhsa_exception_fp_ieee_underflow 0
		.amdhsa_exception_fp_ieee_inexact 0
		.amdhsa_exception_int_div_zero 0
	.end_amdhsa_kernel
	.section	.text._ZN9rocsolver6v33100L18larfg_kernel_smallILi64EdldPdEEvT1_T3_llPT2_llS4_lS3_lPT0_l,"axG",@progbits,_ZN9rocsolver6v33100L18larfg_kernel_smallILi64EdldPdEEvT1_T3_llPT2_llS4_lS3_lPT0_l,comdat
.Lfunc_end10:
	.size	_ZN9rocsolver6v33100L18larfg_kernel_smallILi64EdldPdEEvT1_T3_llPT2_llS4_lS3_lPT0_l, .Lfunc_end10-_ZN9rocsolver6v33100L18larfg_kernel_smallILi64EdldPdEEvT1_T3_llPT2_llS4_lS3_lPT0_l
                                        ; -- End function
	.set _ZN9rocsolver6v33100L18larfg_kernel_smallILi64EdldPdEEvT1_T3_llPT2_llS4_lS3_lPT0_l.num_vgpr, 25
	.set _ZN9rocsolver6v33100L18larfg_kernel_smallILi64EdldPdEEvT1_T3_llPT2_llS4_lS3_lPT0_l.num_agpr, 0
	.set _ZN9rocsolver6v33100L18larfg_kernel_smallILi64EdldPdEEvT1_T3_llPT2_llS4_lS3_lPT0_l.numbered_sgpr, 35
	.set _ZN9rocsolver6v33100L18larfg_kernel_smallILi64EdldPdEEvT1_T3_llPT2_llS4_lS3_lPT0_l.num_named_barrier, 0
	.set _ZN9rocsolver6v33100L18larfg_kernel_smallILi64EdldPdEEvT1_T3_llPT2_llS4_lS3_lPT0_l.private_seg_size, 0
	.set _ZN9rocsolver6v33100L18larfg_kernel_smallILi64EdldPdEEvT1_T3_llPT2_llS4_lS3_lPT0_l.uses_vcc, 1
	.set _ZN9rocsolver6v33100L18larfg_kernel_smallILi64EdldPdEEvT1_T3_llPT2_llS4_lS3_lPT0_l.uses_flat_scratch, 0
	.set _ZN9rocsolver6v33100L18larfg_kernel_smallILi64EdldPdEEvT1_T3_llPT2_llS4_lS3_lPT0_l.has_dyn_sized_stack, 0
	.set _ZN9rocsolver6v33100L18larfg_kernel_smallILi64EdldPdEEvT1_T3_llPT2_llS4_lS3_lPT0_l.has_recursion, 0
	.set _ZN9rocsolver6v33100L18larfg_kernel_smallILi64EdldPdEEvT1_T3_llPT2_llS4_lS3_lPT0_l.has_indirect_call, 0
	.section	.AMDGPU.csdata,"",@progbits
; Kernel info:
; codeLenInByte = 1404
; TotalNumSgprs: 41
; NumVgprs: 25
; NumAgprs: 0
; TotalNumVgprs: 25
; ScratchSize: 0
; MemoryBound: 0
; FloatMode: 240
; IeeeMode: 1
; LDSByteSize: 8 bytes/workgroup (compile time only)
; SGPRBlocks: 5
; VGPRBlocks: 3
; NumSGPRsForWavesPerEU: 41
; NumVGPRsForWavesPerEU: 25
; AccumOffset: 28
; Occupancy: 8
; WaveLimiterHint : 0
; COMPUTE_PGM_RSRC2:SCRATCH_EN: 0
; COMPUTE_PGM_RSRC2:USER_SGPR: 2
; COMPUTE_PGM_RSRC2:TRAP_HANDLER: 0
; COMPUTE_PGM_RSRC2:TGID_X_EN: 1
; COMPUTE_PGM_RSRC2:TGID_Y_EN: 0
; COMPUTE_PGM_RSRC2:TGID_Z_EN: 1
; COMPUTE_PGM_RSRC2:TIDIG_COMP_CNT: 0
; COMPUTE_PGM_RSRC3_GFX90A:ACCUM_OFFSET: 6
; COMPUTE_PGM_RSRC3_GFX90A:TG_SPLIT: 0
	.section	.text._ZN9rocsolver6v33100L18larfg_kernel_smallILi128EdldPdEEvT1_T3_llPT2_llS4_lS3_lPT0_l,"axG",@progbits,_ZN9rocsolver6v33100L18larfg_kernel_smallILi128EdldPdEEvT1_T3_llPT2_llS4_lS3_lPT0_l,comdat
	.globl	_ZN9rocsolver6v33100L18larfg_kernel_smallILi128EdldPdEEvT1_T3_llPT2_llS4_lS3_lPT0_l ; -- Begin function _ZN9rocsolver6v33100L18larfg_kernel_smallILi128EdldPdEEvT1_T3_llPT2_llS4_lS3_lPT0_l
	.p2align	8
	.type	_ZN9rocsolver6v33100L18larfg_kernel_smallILi128EdldPdEEvT1_T3_llPT2_llS4_lS3_lPT0_l,@function
_ZN9rocsolver6v33100L18larfg_kernel_smallILi128EdldPdEEvT1_T3_llPT2_llS4_lS3_lPT0_l: ; @_ZN9rocsolver6v33100L18larfg_kernel_smallILi128EdldPdEEvT1_T3_llPT2_llS4_lS3_lPT0_l
; %bb.0:
	s_load_dwordx16 s[4:19], s[0:1], 0x0
	s_mov_b64 s[28:29], 0
	s_waitcnt lgkmcnt(0)
	s_cmp_eq_u64 s[12:13], 0
	s_cbranch_scc1 .LBB11_2
; %bb.1:
	s_mul_i32 s2, s17, s3
	s_mul_hi_u32 s17, s16, s3
	s_add_i32 s17, s17, s2
	s_mul_i32 s16, s16, s3
	s_lshl_b64 s[16:17], s[16:17], 3
	s_add_u32 s2, s12, s16
	s_addc_u32 s16, s13, s17
	s_lshl_b64 s[12:13], s[14:15], 3
	s_add_u32 s28, s2, s12
	s_addc_u32 s29, s16, s13
.LBB11_2:
	s_load_dwordx8 s[20:27], s[0:1], 0x40
	s_load_dwordx2 s[16:17], s[0:1], 0x60
	s_add_u32 s4, s4, -1
	v_mov_b32_e32 v1, 0
	s_addc_u32 s5, s5, -1
	v_cmp_gt_i64_e64 s[0:1], s[4:5], v[0:1]
	v_mov_b64_e32 v[2:3], 0
	s_waitcnt lgkmcnt(0)
	s_mul_i32 s33, s25, s3
	s_mul_hi_u32 s36, s24, s3
	s_mul_i32 s12, s24, s3
	s_and_saveexec_b64 s[14:15], s[0:1]
	s_cbranch_execz .LBB11_6
; %bb.3:
	v_mad_u64_u32 v[2:3], s[30:31], s22, v0, 0
	v_mov_b32_e32 v4, v3
	s_add_i32 s13, s36, s33
	v_mad_u64_u32 v[4:5], s[30:31], s23, v0, v[4:5]
	s_lshl_b64 s[24:25], s[12:13], 3
	s_lshl_b64 s[30:31], s[20:21], 3
	s_add_u32 s2, s18, s30
	s_addc_u32 s13, s19, s31
	s_add_u32 s24, s2, s24
	v_mov_b32_e32 v3, v4
	s_addc_u32 s25, s13, s25
	v_lshl_add_u64 v[4:5], v[2:3], 3, s[24:25]
	s_lshl_b64 s[24:25], s[22:23], 10
	v_mov_b64_e32 v[2:3], 0
	s_mov_b64 s[30:31], 0
	s_mov_b64 s[34:35], 0x80
	v_mov_b64_e32 v[6:7], v[0:1]
.LBB11_4:                               ; =>This Inner Loop Header: Depth=1
	global_load_dwordx2 v[8:9], v[4:5], off
	v_lshl_add_u64 v[6:7], v[6:7], 0, s[34:35]
	v_cmp_le_i64_e32 vcc, s[4:5], v[6:7]
	v_lshl_add_u64 v[4:5], v[4:5], 0, s[24:25]
	s_or_b64 s[30:31], vcc, s[30:31]
	s_waitcnt vmcnt(0)
	v_fmac_f64_e32 v[2:3], v[8:9], v[8:9]
	s_andn2_b64 exec, exec, s[30:31]
	s_cbranch_execnz .LBB11_4
; %bb.5:
	s_or_b64 exec, exec, s[30:31]
.LBB11_6:
	s_or_b64 exec, exec, s[14:15]
	v_mbcnt_lo_u32_b32 v4, -1, 0
	v_mbcnt_hi_u32_b32 v6, -1, v4
	v_and_b32_e32 v7, 63, v6
	v_cmp_ne_u32_e32 vcc, 63, v7
	s_nop 1
	v_addc_co_u32_e32 v4, vcc, 0, v6, vcc
	v_lshlrev_b32_e32 v5, 2, v4
	ds_bpermute_b32 v4, v5, v2
	ds_bpermute_b32 v5, v5, v3
	v_cmp_gt_u32_e32 vcc, 62, v7
	s_waitcnt lgkmcnt(0)
	v_add_f64 v[2:3], v[2:3], v[4:5]
	v_cndmask_b32_e64 v4, 0, 2, vcc
	v_add_lshl_u32 v5, v4, v6, 2
	ds_bpermute_b32 v4, v5, v2
	ds_bpermute_b32 v5, v5, v3
	v_cmp_gt_u32_e32 vcc, 60, v7
	s_waitcnt lgkmcnt(0)
	v_add_f64 v[2:3], v[2:3], v[4:5]
	v_cndmask_b32_e64 v4, 0, 4, vcc
	v_add_lshl_u32 v5, v4, v6, 2
	;; [unrolled: 7-line block ×3, first 2 shown]
	ds_bpermute_b32 v4, v5, v2
	ds_bpermute_b32 v5, v5, v3
	v_cmp_gt_u32_e32 vcc, 48, v7
	v_mov_b32_e32 v7, 0x80
	s_waitcnt lgkmcnt(0)
	v_add_f64 v[2:3], v[2:3], v[4:5]
	v_cndmask_b32_e64 v4, 0, 16, vcc
	v_add_lshl_u32 v5, v4, v6, 2
	ds_bpermute_b32 v4, v5, v2
	ds_bpermute_b32 v5, v5, v3
	s_waitcnt lgkmcnt(0)
	v_add_f64 v[2:3], v[2:3], v[4:5]
	v_lshl_or_b32 v5, v6, 2, v7
	ds_bpermute_b32 v4, v5, v2
	ds_bpermute_b32 v5, v5, v3
	v_and_b32_e32 v6, 63, v0
	v_cmp_eq_u32_e32 vcc, 0, v6
	s_waitcnt lgkmcnt(0)
	v_add_f64 v[2:3], v[2:3], v[4:5]
	s_and_saveexec_b64 s[14:15], vcc
; %bb.7:
	v_lshrrev_b32_e32 v4, 3, v0
	ds_write_b64 v4, v[2:3]
; %bb.8:
	s_or_b64 exec, exec, s[14:15]
	v_cmp_eq_u32_e32 vcc, 0, v0
	s_waitcnt lgkmcnt(0)
	s_barrier
	s_and_saveexec_b64 s[14:15], vcc
	s_cbranch_execz .LBB11_10
; %bb.9:
	v_mov_b32_e32 v6, 0
	ds_read_b64 v[4:5], v6 offset:8
	s_waitcnt lgkmcnt(0)
	v_add_f64 v[2:3], v[2:3], v[4:5]
	ds_write_b64 v6, v[2:3]
.LBB11_10:
	s_or_b64 exec, exec, s[14:15]
	s_waitcnt lgkmcnt(0)
	s_barrier
	s_and_saveexec_b64 s[14:15], vcc
	s_cbranch_execz .LBB11_20
; %bb.11:
	s_mul_i32 s2, s11, s3
	s_mul_hi_u32 s11, s10, s3
	s_add_i32 s11, s11, s2
	s_mul_i32 s10, s10, s3
	s_lshl_b64 s[10:11], s[10:11], 3
	s_add_u32 s2, s6, s10
	s_addc_u32 s10, s7, s11
	s_lshl_b64 s[6:7], s[8:9], 3
	s_add_u32 s6, s2, s6
	s_mul_i32 s2, s17, s3
	s_mul_hi_u32 s8, s16, s3
	v_mov_b32_e32 v2, 0
	s_addc_u32 s7, s10, s7
	s_add_i32 s9, s8, s2
	s_mul_i32 s8, s16, s3
	ds_read_b64 v[4:5], v2
	s_lshl_b64 s[2:3], s[8:9], 3
	s_add_u32 s8, s26, s2
	s_addc_u32 s9, s27, s3
	s_cmp_eq_u64 s[28:29], 0
	s_cselect_b64 s[2:3], -1, 0
	s_cmp_lg_u64 s[28:29], 0
	s_waitcnt lgkmcnt(0)
	v_cmp_nlt_f64_e32 vcc, 0, v[4:5]
	s_mov_b64 s[16:17], 0
	s_cselect_b64 s[10:11], -1, 0
	s_cbranch_vccz .LBB11_14
; %bb.12:
	v_mov_b32_e32 v3, 0x3ff00000
	ds_write_b64 v2, v[2:3]
	v_mov_b32_e32 v3, v2
	s_mov_b64 s[26:27], 0
	s_and_b64 vcc, exec, s[10:11]
	global_store_dwordx2 v2, v[2:3], s[8:9]
	s_cbranch_vccz .LBB11_15
; %bb.13:
	v_mov_b32_e32 v2, 0
	global_load_dwordx2 v[2:3], v2, s[6:7]
	s_mov_b64 s[24:25], -1
	s_and_b64 vcc, exec, s[26:27]
	s_cbranch_vccnz .LBB11_16
	s_branch .LBB11_17
.LBB11_14:
	s_mov_b64 s[26:27], -1
.LBB11_15:
	s_mov_b64 s[24:25], 0
                                        ; implicit-def: $vgpr2_vgpr3
	s_and_b64 vcc, exec, s[26:27]
	s_cbranch_vccz .LBB11_17
.LBB11_16:
	v_mov_b32_e32 v24, 0
	global_load_dwordx2 v[6:7], v24, s[6:7]
	s_mov_b32 s16, 0
	s_brev_b32 s17, 8
	v_mov_b32_e32 v12, 0x260
	s_mov_b64 s[24:25], s[10:11]
	s_waitcnt vmcnt(0)
	v_fmac_f64_e32 v[4:5], v[6:7], v[6:7]
	v_cmp_gt_f64_e32 vcc, s[16:17], v[4:5]
	s_and_b64 s[16:17], vcc, exec
	s_cselect_b32 s13, 0x100, 0
	v_ldexp_f64 v[2:3], v[4:5], s13
	v_rsq_f64_e32 v[4:5], v[2:3]
	s_mov_b64 s[16:17], s[2:3]
	s_cselect_b32 s2, 0xffffff80, 0
	v_cmp_class_f64_e32 vcc, v[2:3], v12
	v_mul_f64 v[8:9], v[2:3], v[4:5]
	v_mul_f64 v[4:5], v[4:5], 0.5
	v_fma_f64 v[10:11], -v[4:5], v[8:9], 0.5
	v_fmac_f64_e32 v[8:9], v[8:9], v[10:11]
	v_fmac_f64_e32 v[4:5], v[4:5], v[10:11]
	v_fma_f64 v[10:11], -v[8:9], v[8:9], v[2:3]
	v_fmac_f64_e32 v[8:9], v[10:11], v[4:5]
	v_fma_f64 v[10:11], -v[8:9], v[8:9], v[2:3]
	v_fmac_f64_e32 v[8:9], v[10:11], v[4:5]
	v_ldexp_f64 v[4:5], v[8:9], s2
	v_cndmask_b32_e32 v3, v5, v3, vcc
	v_cndmask_b32_e32 v2, v4, v2, vcc
	v_xor_b32_e32 v4, 0x80000000, v3
	v_cmp_le_f64_e32 vcc, 0, v[6:7]
	s_nop 1
	v_cndmask_b32_e32 v3, v3, v4, vcc
	v_add_f64 v[4:5], v[6:7], -v[2:3]
	v_add_f64 v[6:7], v[2:3], -v[6:7]
	v_div_scale_f64 v[8:9], s[2:3], v[4:5], v[4:5], 1.0
	v_div_scale_f64 v[12:13], s[2:3], v[2:3], v[2:3], v[6:7]
	v_rcp_f64_e32 v[14:15], v[8:9]
	v_rcp_f64_e32 v[16:17], v[12:13]
	v_div_scale_f64 v[10:11], vcc, 1.0, v[4:5], 1.0
	v_fma_f64 v[20:21], -v[8:9], v[14:15], 1.0
	v_fma_f64 v[22:23], -v[12:13], v[16:17], 1.0
	v_fmac_f64_e32 v[14:15], v[14:15], v[20:21]
	v_fmac_f64_e32 v[16:17], v[16:17], v[22:23]
	v_fma_f64 v[20:21], -v[8:9], v[14:15], 1.0
	v_fma_f64 v[22:23], -v[12:13], v[16:17], 1.0
	v_fmac_f64_e32 v[14:15], v[14:15], v[20:21]
	v_div_scale_f64 v[18:19], s[2:3], v[6:7], v[2:3], v[6:7]
	v_fmac_f64_e32 v[16:17], v[16:17], v[22:23]
	v_mul_f64 v[20:21], v[10:11], v[14:15]
	v_mul_f64 v[22:23], v[18:19], v[16:17]
	v_fma_f64 v[8:9], -v[8:9], v[20:21], v[10:11]
	v_fma_f64 v[10:11], -v[12:13], v[22:23], v[18:19]
	v_div_fmas_f64 v[8:9], v[8:9], v[14:15], v[20:21]
	s_mov_b64 vcc, s[2:3]
	v_div_fixup_f64 v[4:5], v[8:9], v[4:5], 1.0
	v_div_fmas_f64 v[8:9], v[10:11], v[16:17], v[22:23]
	ds_write_b64 v24, v[4:5]
	v_div_fixup_f64 v[4:5], v[8:9], v[2:3], v[6:7]
	global_store_dwordx2 v24, v[4:5], s[8:9]
.LBB11_17:
	s_andn2_b64 vcc, exec, s[24:25]
	s_cbranch_vccz .LBB11_24
; %bb.18:
	s_andn2_b64 vcc, exec, s[16:17]
	s_cbranch_vccnz .LBB11_20
.LBB11_19:
	v_mov_b32_e32 v4, 0
	s_waitcnt vmcnt(0)
	global_store_dwordx2 v4, v[2:3], s[6:7]
.LBB11_20:
	s_or_b64 exec, exec, s[14:15]
	s_waitcnt lgkmcnt(0)
	s_barrier
	s_and_saveexec_b64 s[2:3], s[0:1]
	s_cbranch_execz .LBB11_23
; %bb.21:
	v_mad_u64_u32 v[4:5], s[2:3], s22, v0, 0
	v_mov_b32_e32 v6, v5
	s_add_i32 s13, s36, s33
	v_mad_u64_u32 v[6:7], s[2:3], s23, v0, v[6:7]
	s_waitcnt vmcnt(0)
	v_mov_b32_e32 v2, 0
	s_lshl_b64 s[0:1], s[12:13], 3
	s_lshl_b64 s[2:3], s[20:21], 3
	ds_read_b64 v[2:3], v2
	s_add_u32 s2, s18, s2
	s_addc_u32 s3, s19, s3
	s_add_u32 s0, s2, s0
	v_mov_b32_e32 v5, v6
	s_addc_u32 s1, s3, s1
	v_lshl_add_u64 v[4:5], v[4:5], 3, s[0:1]
	s_lshl_b64 s[0:1], s[22:23], 10
	s_mov_b64 s[2:3], 0
	s_mov_b64 s[6:7], 0x80
.LBB11_22:                              ; =>This Inner Loop Header: Depth=1
	global_load_dwordx2 v[6:7], v[4:5], off
	v_lshl_add_u64 v[0:1], v[0:1], 0, s[6:7]
	v_cmp_le_i64_e32 vcc, s[4:5], v[0:1]
	s_or_b64 s[2:3], vcc, s[2:3]
	s_waitcnt vmcnt(0) lgkmcnt(0)
	v_mul_f64 v[6:7], v[2:3], v[6:7]
	global_store_dwordx2 v[4:5], v[6:7], off
	v_lshl_add_u64 v[4:5], v[4:5], 0, s[0:1]
	s_andn2_b64 exec, exec, s[2:3]
	s_cbranch_execnz .LBB11_22
.LBB11_23:
	s_endpgm
.LBB11_24:
	v_mov_b32_e32 v4, 0
	s_waitcnt vmcnt(0)
	global_store_dwordx2 v4, v[2:3], s[28:29]
	v_mov_b64_e32 v[2:3], 1.0
	s_branch .LBB11_19
	.section	.rodata,"a",@progbits
	.p2align	6, 0x0
	.amdhsa_kernel _ZN9rocsolver6v33100L18larfg_kernel_smallILi128EdldPdEEvT1_T3_llPT2_llS4_lS3_lPT0_l
		.amdhsa_group_segment_fixed_size 16
		.amdhsa_private_segment_fixed_size 0
		.amdhsa_kernarg_size 104
		.amdhsa_user_sgpr_count 2
		.amdhsa_user_sgpr_dispatch_ptr 0
		.amdhsa_user_sgpr_queue_ptr 0
		.amdhsa_user_sgpr_kernarg_segment_ptr 1
		.amdhsa_user_sgpr_dispatch_id 0
		.amdhsa_user_sgpr_kernarg_preload_length 0
		.amdhsa_user_sgpr_kernarg_preload_offset 0
		.amdhsa_user_sgpr_private_segment_size 0
		.amdhsa_uses_dynamic_stack 0
		.amdhsa_enable_private_segment 0
		.amdhsa_system_sgpr_workgroup_id_x 1
		.amdhsa_system_sgpr_workgroup_id_y 0
		.amdhsa_system_sgpr_workgroup_id_z 1
		.amdhsa_system_sgpr_workgroup_info 0
		.amdhsa_system_vgpr_workitem_id 0
		.amdhsa_next_free_vgpr 25
		.amdhsa_next_free_sgpr 37
		.amdhsa_accum_offset 28
		.amdhsa_reserve_vcc 1
		.amdhsa_float_round_mode_32 0
		.amdhsa_float_round_mode_16_64 0
		.amdhsa_float_denorm_mode_32 3
		.amdhsa_float_denorm_mode_16_64 3
		.amdhsa_dx10_clamp 1
		.amdhsa_ieee_mode 1
		.amdhsa_fp16_overflow 0
		.amdhsa_tg_split 0
		.amdhsa_exception_fp_ieee_invalid_op 0
		.amdhsa_exception_fp_denorm_src 0
		.amdhsa_exception_fp_ieee_div_zero 0
		.amdhsa_exception_fp_ieee_overflow 0
		.amdhsa_exception_fp_ieee_underflow 0
		.amdhsa_exception_fp_ieee_inexact 0
		.amdhsa_exception_int_div_zero 0
	.end_amdhsa_kernel
	.section	.text._ZN9rocsolver6v33100L18larfg_kernel_smallILi128EdldPdEEvT1_T3_llPT2_llS4_lS3_lPT0_l,"axG",@progbits,_ZN9rocsolver6v33100L18larfg_kernel_smallILi128EdldPdEEvT1_T3_llPT2_llS4_lS3_lPT0_l,comdat
.Lfunc_end11:
	.size	_ZN9rocsolver6v33100L18larfg_kernel_smallILi128EdldPdEEvT1_T3_llPT2_llS4_lS3_lPT0_l, .Lfunc_end11-_ZN9rocsolver6v33100L18larfg_kernel_smallILi128EdldPdEEvT1_T3_llPT2_llS4_lS3_lPT0_l
                                        ; -- End function
	.set _ZN9rocsolver6v33100L18larfg_kernel_smallILi128EdldPdEEvT1_T3_llPT2_llS4_lS3_lPT0_l.num_vgpr, 25
	.set _ZN9rocsolver6v33100L18larfg_kernel_smallILi128EdldPdEEvT1_T3_llPT2_llS4_lS3_lPT0_l.num_agpr, 0
	.set _ZN9rocsolver6v33100L18larfg_kernel_smallILi128EdldPdEEvT1_T3_llPT2_llS4_lS3_lPT0_l.numbered_sgpr, 37
	.set _ZN9rocsolver6v33100L18larfg_kernel_smallILi128EdldPdEEvT1_T3_llPT2_llS4_lS3_lPT0_l.num_named_barrier, 0
	.set _ZN9rocsolver6v33100L18larfg_kernel_smallILi128EdldPdEEvT1_T3_llPT2_llS4_lS3_lPT0_l.private_seg_size, 0
	.set _ZN9rocsolver6v33100L18larfg_kernel_smallILi128EdldPdEEvT1_T3_llPT2_llS4_lS3_lPT0_l.uses_vcc, 1
	.set _ZN9rocsolver6v33100L18larfg_kernel_smallILi128EdldPdEEvT1_T3_llPT2_llS4_lS3_lPT0_l.uses_flat_scratch, 0
	.set _ZN9rocsolver6v33100L18larfg_kernel_smallILi128EdldPdEEvT1_T3_llPT2_llS4_lS3_lPT0_l.has_dyn_sized_stack, 0
	.set _ZN9rocsolver6v33100L18larfg_kernel_smallILi128EdldPdEEvT1_T3_llPT2_llS4_lS3_lPT0_l.has_recursion, 0
	.set _ZN9rocsolver6v33100L18larfg_kernel_smallILi128EdldPdEEvT1_T3_llPT2_llS4_lS3_lPT0_l.has_indirect_call, 0
	.section	.AMDGPU.csdata,"",@progbits
; Kernel info:
; codeLenInByte = 1460
; TotalNumSgprs: 43
; NumVgprs: 25
; NumAgprs: 0
; TotalNumVgprs: 25
; ScratchSize: 0
; MemoryBound: 0
; FloatMode: 240
; IeeeMode: 1
; LDSByteSize: 16 bytes/workgroup (compile time only)
; SGPRBlocks: 5
; VGPRBlocks: 3
; NumSGPRsForWavesPerEU: 43
; NumVGPRsForWavesPerEU: 25
; AccumOffset: 28
; Occupancy: 8
; WaveLimiterHint : 0
; COMPUTE_PGM_RSRC2:SCRATCH_EN: 0
; COMPUTE_PGM_RSRC2:USER_SGPR: 2
; COMPUTE_PGM_RSRC2:TRAP_HANDLER: 0
; COMPUTE_PGM_RSRC2:TGID_X_EN: 1
; COMPUTE_PGM_RSRC2:TGID_Y_EN: 0
; COMPUTE_PGM_RSRC2:TGID_Z_EN: 1
; COMPUTE_PGM_RSRC2:TIDIG_COMP_CNT: 0
; COMPUTE_PGM_RSRC3_GFX90A:ACCUM_OFFSET: 6
; COMPUTE_PGM_RSRC3_GFX90A:TG_SPLIT: 0
	.section	.text._ZN9rocsolver6v33100L18larfg_kernel_smallILi256EdldPdEEvT1_T3_llPT2_llS4_lS3_lPT0_l,"axG",@progbits,_ZN9rocsolver6v33100L18larfg_kernel_smallILi256EdldPdEEvT1_T3_llPT2_llS4_lS3_lPT0_l,comdat
	.globl	_ZN9rocsolver6v33100L18larfg_kernel_smallILi256EdldPdEEvT1_T3_llPT2_llS4_lS3_lPT0_l ; -- Begin function _ZN9rocsolver6v33100L18larfg_kernel_smallILi256EdldPdEEvT1_T3_llPT2_llS4_lS3_lPT0_l
	.p2align	8
	.type	_ZN9rocsolver6v33100L18larfg_kernel_smallILi256EdldPdEEvT1_T3_llPT2_llS4_lS3_lPT0_l,@function
_ZN9rocsolver6v33100L18larfg_kernel_smallILi256EdldPdEEvT1_T3_llPT2_llS4_lS3_lPT0_l: ; @_ZN9rocsolver6v33100L18larfg_kernel_smallILi256EdldPdEEvT1_T3_llPT2_llS4_lS3_lPT0_l
; %bb.0:
	s_load_dwordx16 s[4:19], s[0:1], 0x0
	s_mov_b64 s[28:29], 0
	s_waitcnt lgkmcnt(0)
	s_cmp_eq_u64 s[12:13], 0
	s_cbranch_scc1 .LBB12_2
; %bb.1:
	s_mul_i32 s2, s17, s3
	s_mul_hi_u32 s17, s16, s3
	s_add_i32 s17, s17, s2
	s_mul_i32 s16, s16, s3
	s_lshl_b64 s[16:17], s[16:17], 3
	s_add_u32 s2, s12, s16
	s_addc_u32 s16, s13, s17
	s_lshl_b64 s[12:13], s[14:15], 3
	s_add_u32 s28, s2, s12
	s_addc_u32 s29, s16, s13
.LBB12_2:
	s_load_dwordx8 s[20:27], s[0:1], 0x40
	s_load_dwordx2 s[16:17], s[0:1], 0x60
	s_add_u32 s4, s4, -1
	v_mov_b32_e32 v1, 0
	s_addc_u32 s5, s5, -1
	v_cmp_gt_i64_e64 s[0:1], s[4:5], v[0:1]
	v_mov_b64_e32 v[2:3], 0
	s_waitcnt lgkmcnt(0)
	s_mul_i32 s33, s25, s3
	s_mul_hi_u32 s36, s24, s3
	s_mul_i32 s12, s24, s3
	s_and_saveexec_b64 s[14:15], s[0:1]
	s_cbranch_execz .LBB12_6
; %bb.3:
	v_mad_u64_u32 v[2:3], s[30:31], s22, v0, 0
	v_mov_b32_e32 v4, v3
	s_add_i32 s13, s36, s33
	v_mad_u64_u32 v[4:5], s[30:31], s23, v0, v[4:5]
	s_lshl_b64 s[24:25], s[12:13], 3
	s_lshl_b64 s[30:31], s[20:21], 3
	s_add_u32 s2, s18, s30
	s_addc_u32 s13, s19, s31
	s_add_u32 s24, s2, s24
	v_mov_b32_e32 v3, v4
	s_addc_u32 s25, s13, s25
	v_lshl_add_u64 v[4:5], v[2:3], 3, s[24:25]
	s_lshl_b64 s[24:25], s[22:23], 11
	v_mov_b64_e32 v[2:3], 0
	s_mov_b64 s[30:31], 0
	s_mov_b64 s[34:35], 0x100
	v_mov_b64_e32 v[6:7], v[0:1]
.LBB12_4:                               ; =>This Inner Loop Header: Depth=1
	global_load_dwordx2 v[8:9], v[4:5], off
	v_lshl_add_u64 v[6:7], v[6:7], 0, s[34:35]
	v_cmp_le_i64_e32 vcc, s[4:5], v[6:7]
	v_lshl_add_u64 v[4:5], v[4:5], 0, s[24:25]
	s_or_b64 s[30:31], vcc, s[30:31]
	s_waitcnt vmcnt(0)
	v_fmac_f64_e32 v[2:3], v[8:9], v[8:9]
	s_andn2_b64 exec, exec, s[30:31]
	s_cbranch_execnz .LBB12_4
; %bb.5:
	s_or_b64 exec, exec, s[30:31]
.LBB12_6:
	s_or_b64 exec, exec, s[14:15]
	v_mbcnt_lo_u32_b32 v4, -1, 0
	v_mbcnt_hi_u32_b32 v6, -1, v4
	v_and_b32_e32 v7, 63, v6
	v_cmp_ne_u32_e32 vcc, 63, v7
	s_nop 1
	v_addc_co_u32_e32 v4, vcc, 0, v6, vcc
	v_lshlrev_b32_e32 v5, 2, v4
	ds_bpermute_b32 v4, v5, v2
	ds_bpermute_b32 v5, v5, v3
	v_cmp_gt_u32_e32 vcc, 62, v7
	s_waitcnt lgkmcnt(0)
	v_add_f64 v[2:3], v[2:3], v[4:5]
	v_cndmask_b32_e64 v4, 0, 2, vcc
	v_add_lshl_u32 v5, v4, v6, 2
	ds_bpermute_b32 v4, v5, v2
	ds_bpermute_b32 v5, v5, v3
	v_cmp_gt_u32_e32 vcc, 60, v7
	s_waitcnt lgkmcnt(0)
	v_add_f64 v[2:3], v[2:3], v[4:5]
	v_cndmask_b32_e64 v4, 0, 4, vcc
	v_add_lshl_u32 v5, v4, v6, 2
	;; [unrolled: 7-line block ×3, first 2 shown]
	ds_bpermute_b32 v4, v5, v2
	ds_bpermute_b32 v5, v5, v3
	v_cmp_gt_u32_e32 vcc, 48, v7
	v_mov_b32_e32 v7, 0x80
	s_waitcnt lgkmcnt(0)
	v_add_f64 v[2:3], v[2:3], v[4:5]
	v_cndmask_b32_e64 v4, 0, 16, vcc
	v_add_lshl_u32 v5, v4, v6, 2
	ds_bpermute_b32 v4, v5, v2
	ds_bpermute_b32 v5, v5, v3
	s_waitcnt lgkmcnt(0)
	v_add_f64 v[2:3], v[2:3], v[4:5]
	v_lshl_or_b32 v5, v6, 2, v7
	ds_bpermute_b32 v4, v5, v2
	ds_bpermute_b32 v5, v5, v3
	v_and_b32_e32 v6, 63, v0
	v_cmp_eq_u32_e32 vcc, 0, v6
	s_waitcnt lgkmcnt(0)
	v_add_f64 v[2:3], v[2:3], v[4:5]
	s_and_saveexec_b64 s[14:15], vcc
; %bb.7:
	v_lshrrev_b32_e32 v4, 3, v0
	ds_write_b64 v4, v[2:3]
; %bb.8:
	s_or_b64 exec, exec, s[14:15]
	v_cmp_eq_u32_e32 vcc, 0, v0
	s_waitcnt lgkmcnt(0)
	s_barrier
	s_and_saveexec_b64 s[14:15], vcc
	s_cbranch_execz .LBB12_10
; %bb.9:
	v_mov_b32_e32 v10, 0
	ds_read2_b64 v[4:7], v10 offset0:1 offset1:2
	ds_read_b64 v[8:9], v10 offset:24
	s_waitcnt lgkmcnt(1)
	v_add_f64 v[2:3], v[2:3], v[4:5]
	v_add_f64 v[2:3], v[2:3], v[6:7]
	s_waitcnt lgkmcnt(0)
	v_add_f64 v[2:3], v[2:3], v[8:9]
	ds_write_b64 v10, v[2:3]
.LBB12_10:
	s_or_b64 exec, exec, s[14:15]
	s_waitcnt lgkmcnt(0)
	s_barrier
	s_and_saveexec_b64 s[14:15], vcc
	s_cbranch_execz .LBB12_20
; %bb.11:
	s_mul_i32 s2, s11, s3
	s_mul_hi_u32 s11, s10, s3
	s_add_i32 s11, s11, s2
	s_mul_i32 s10, s10, s3
	s_lshl_b64 s[10:11], s[10:11], 3
	s_add_u32 s2, s6, s10
	s_addc_u32 s10, s7, s11
	s_lshl_b64 s[6:7], s[8:9], 3
	s_add_u32 s6, s2, s6
	s_mul_i32 s2, s17, s3
	s_mul_hi_u32 s8, s16, s3
	v_mov_b32_e32 v2, 0
	s_addc_u32 s7, s10, s7
	s_add_i32 s9, s8, s2
	s_mul_i32 s8, s16, s3
	ds_read_b64 v[4:5], v2
	s_lshl_b64 s[2:3], s[8:9], 3
	s_add_u32 s8, s26, s2
	s_addc_u32 s9, s27, s3
	s_cmp_eq_u64 s[28:29], 0
	s_cselect_b64 s[2:3], -1, 0
	s_cmp_lg_u64 s[28:29], 0
	s_waitcnt lgkmcnt(0)
	v_cmp_nlt_f64_e32 vcc, 0, v[4:5]
	s_mov_b64 s[16:17], 0
	s_cselect_b64 s[10:11], -1, 0
	s_cbranch_vccz .LBB12_14
; %bb.12:
	v_mov_b32_e32 v3, 0x3ff00000
	ds_write_b64 v2, v[2:3]
	v_mov_b32_e32 v3, v2
	s_mov_b64 s[26:27], 0
	s_and_b64 vcc, exec, s[10:11]
	global_store_dwordx2 v2, v[2:3], s[8:9]
	s_cbranch_vccz .LBB12_15
; %bb.13:
	v_mov_b32_e32 v2, 0
	global_load_dwordx2 v[2:3], v2, s[6:7]
	s_mov_b64 s[24:25], -1
	s_and_b64 vcc, exec, s[26:27]
	s_cbranch_vccnz .LBB12_16
	s_branch .LBB12_17
.LBB12_14:
	s_mov_b64 s[26:27], -1
.LBB12_15:
	s_mov_b64 s[24:25], 0
                                        ; implicit-def: $vgpr2_vgpr3
	s_and_b64 vcc, exec, s[26:27]
	s_cbranch_vccz .LBB12_17
.LBB12_16:
	v_mov_b32_e32 v24, 0
	global_load_dwordx2 v[6:7], v24, s[6:7]
	s_mov_b32 s16, 0
	s_brev_b32 s17, 8
	v_mov_b32_e32 v12, 0x260
	s_mov_b64 s[24:25], s[10:11]
	s_waitcnt vmcnt(0)
	v_fmac_f64_e32 v[4:5], v[6:7], v[6:7]
	v_cmp_gt_f64_e32 vcc, s[16:17], v[4:5]
	s_and_b64 s[16:17], vcc, exec
	s_cselect_b32 s13, 0x100, 0
	v_ldexp_f64 v[2:3], v[4:5], s13
	v_rsq_f64_e32 v[4:5], v[2:3]
	s_mov_b64 s[16:17], s[2:3]
	s_cselect_b32 s2, 0xffffff80, 0
	v_cmp_class_f64_e32 vcc, v[2:3], v12
	v_mul_f64 v[8:9], v[2:3], v[4:5]
	v_mul_f64 v[4:5], v[4:5], 0.5
	v_fma_f64 v[10:11], -v[4:5], v[8:9], 0.5
	v_fmac_f64_e32 v[8:9], v[8:9], v[10:11]
	v_fmac_f64_e32 v[4:5], v[4:5], v[10:11]
	v_fma_f64 v[10:11], -v[8:9], v[8:9], v[2:3]
	v_fmac_f64_e32 v[8:9], v[10:11], v[4:5]
	v_fma_f64 v[10:11], -v[8:9], v[8:9], v[2:3]
	v_fmac_f64_e32 v[8:9], v[10:11], v[4:5]
	v_ldexp_f64 v[4:5], v[8:9], s2
	v_cndmask_b32_e32 v3, v5, v3, vcc
	v_cndmask_b32_e32 v2, v4, v2, vcc
	v_xor_b32_e32 v4, 0x80000000, v3
	v_cmp_le_f64_e32 vcc, 0, v[6:7]
	s_nop 1
	v_cndmask_b32_e32 v3, v3, v4, vcc
	v_add_f64 v[4:5], v[6:7], -v[2:3]
	v_add_f64 v[6:7], v[2:3], -v[6:7]
	v_div_scale_f64 v[8:9], s[2:3], v[4:5], v[4:5], 1.0
	v_div_scale_f64 v[12:13], s[2:3], v[2:3], v[2:3], v[6:7]
	v_rcp_f64_e32 v[14:15], v[8:9]
	v_rcp_f64_e32 v[16:17], v[12:13]
	v_div_scale_f64 v[10:11], vcc, 1.0, v[4:5], 1.0
	v_fma_f64 v[20:21], -v[8:9], v[14:15], 1.0
	v_fma_f64 v[22:23], -v[12:13], v[16:17], 1.0
	v_fmac_f64_e32 v[14:15], v[14:15], v[20:21]
	v_fmac_f64_e32 v[16:17], v[16:17], v[22:23]
	v_fma_f64 v[20:21], -v[8:9], v[14:15], 1.0
	v_fma_f64 v[22:23], -v[12:13], v[16:17], 1.0
	v_fmac_f64_e32 v[14:15], v[14:15], v[20:21]
	v_div_scale_f64 v[18:19], s[2:3], v[6:7], v[2:3], v[6:7]
	v_fmac_f64_e32 v[16:17], v[16:17], v[22:23]
	v_mul_f64 v[20:21], v[10:11], v[14:15]
	v_mul_f64 v[22:23], v[18:19], v[16:17]
	v_fma_f64 v[8:9], -v[8:9], v[20:21], v[10:11]
	v_fma_f64 v[10:11], -v[12:13], v[22:23], v[18:19]
	v_div_fmas_f64 v[8:9], v[8:9], v[14:15], v[20:21]
	s_mov_b64 vcc, s[2:3]
	v_div_fixup_f64 v[4:5], v[8:9], v[4:5], 1.0
	v_div_fmas_f64 v[8:9], v[10:11], v[16:17], v[22:23]
	ds_write_b64 v24, v[4:5]
	v_div_fixup_f64 v[4:5], v[8:9], v[2:3], v[6:7]
	global_store_dwordx2 v24, v[4:5], s[8:9]
.LBB12_17:
	s_andn2_b64 vcc, exec, s[24:25]
	s_cbranch_vccz .LBB12_24
; %bb.18:
	s_andn2_b64 vcc, exec, s[16:17]
	s_cbranch_vccnz .LBB12_20
.LBB12_19:
	v_mov_b32_e32 v4, 0
	s_waitcnt vmcnt(0)
	global_store_dwordx2 v4, v[2:3], s[6:7]
.LBB12_20:
	s_or_b64 exec, exec, s[14:15]
	s_waitcnt lgkmcnt(0)
	s_barrier
	s_and_saveexec_b64 s[2:3], s[0:1]
	s_cbranch_execz .LBB12_23
; %bb.21:
	v_mad_u64_u32 v[4:5], s[2:3], s22, v0, 0
	v_mov_b32_e32 v6, v5
	s_add_i32 s13, s36, s33
	v_mad_u64_u32 v[6:7], s[2:3], s23, v0, v[6:7]
	s_waitcnt vmcnt(0)
	v_mov_b32_e32 v2, 0
	s_lshl_b64 s[0:1], s[12:13], 3
	s_lshl_b64 s[2:3], s[20:21], 3
	ds_read_b64 v[2:3], v2
	s_add_u32 s2, s18, s2
	s_addc_u32 s3, s19, s3
	s_add_u32 s0, s2, s0
	v_mov_b32_e32 v5, v6
	s_addc_u32 s1, s3, s1
	v_lshl_add_u64 v[4:5], v[4:5], 3, s[0:1]
	s_lshl_b64 s[0:1], s[22:23], 11
	s_mov_b64 s[2:3], 0
	s_mov_b64 s[6:7], 0x100
.LBB12_22:                              ; =>This Inner Loop Header: Depth=1
	global_load_dwordx2 v[6:7], v[4:5], off
	v_lshl_add_u64 v[0:1], v[0:1], 0, s[6:7]
	v_cmp_le_i64_e32 vcc, s[4:5], v[0:1]
	s_or_b64 s[2:3], vcc, s[2:3]
	s_waitcnt vmcnt(0) lgkmcnt(0)
	v_mul_f64 v[6:7], v[2:3], v[6:7]
	global_store_dwordx2 v[4:5], v[6:7], off
	v_lshl_add_u64 v[4:5], v[4:5], 0, s[0:1]
	s_andn2_b64 exec, exec, s[2:3]
	s_cbranch_execnz .LBB12_22
.LBB12_23:
	s_endpgm
.LBB12_24:
	v_mov_b32_e32 v4, 0
	s_waitcnt vmcnt(0)
	global_store_dwordx2 v4, v[2:3], s[28:29]
	v_mov_b64_e32 v[2:3], 1.0
	s_branch .LBB12_19
	.section	.rodata,"a",@progbits
	.p2align	6, 0x0
	.amdhsa_kernel _ZN9rocsolver6v33100L18larfg_kernel_smallILi256EdldPdEEvT1_T3_llPT2_llS4_lS3_lPT0_l
		.amdhsa_group_segment_fixed_size 32
		.amdhsa_private_segment_fixed_size 0
		.amdhsa_kernarg_size 104
		.amdhsa_user_sgpr_count 2
		.amdhsa_user_sgpr_dispatch_ptr 0
		.amdhsa_user_sgpr_queue_ptr 0
		.amdhsa_user_sgpr_kernarg_segment_ptr 1
		.amdhsa_user_sgpr_dispatch_id 0
		.amdhsa_user_sgpr_kernarg_preload_length 0
		.amdhsa_user_sgpr_kernarg_preload_offset 0
		.amdhsa_user_sgpr_private_segment_size 0
		.amdhsa_uses_dynamic_stack 0
		.amdhsa_enable_private_segment 0
		.amdhsa_system_sgpr_workgroup_id_x 1
		.amdhsa_system_sgpr_workgroup_id_y 0
		.amdhsa_system_sgpr_workgroup_id_z 1
		.amdhsa_system_sgpr_workgroup_info 0
		.amdhsa_system_vgpr_workitem_id 0
		.amdhsa_next_free_vgpr 25
		.amdhsa_next_free_sgpr 37
		.amdhsa_accum_offset 28
		.amdhsa_reserve_vcc 1
		.amdhsa_float_round_mode_32 0
		.amdhsa_float_round_mode_16_64 0
		.amdhsa_float_denorm_mode_32 3
		.amdhsa_float_denorm_mode_16_64 3
		.amdhsa_dx10_clamp 1
		.amdhsa_ieee_mode 1
		.amdhsa_fp16_overflow 0
		.amdhsa_tg_split 0
		.amdhsa_exception_fp_ieee_invalid_op 0
		.amdhsa_exception_fp_denorm_src 0
		.amdhsa_exception_fp_ieee_div_zero 0
		.amdhsa_exception_fp_ieee_overflow 0
		.amdhsa_exception_fp_ieee_underflow 0
		.amdhsa_exception_fp_ieee_inexact 0
		.amdhsa_exception_int_div_zero 0
	.end_amdhsa_kernel
	.section	.text._ZN9rocsolver6v33100L18larfg_kernel_smallILi256EdldPdEEvT1_T3_llPT2_llS4_lS3_lPT0_l,"axG",@progbits,_ZN9rocsolver6v33100L18larfg_kernel_smallILi256EdldPdEEvT1_T3_llPT2_llS4_lS3_lPT0_l,comdat
.Lfunc_end12:
	.size	_ZN9rocsolver6v33100L18larfg_kernel_smallILi256EdldPdEEvT1_T3_llPT2_llS4_lS3_lPT0_l, .Lfunc_end12-_ZN9rocsolver6v33100L18larfg_kernel_smallILi256EdldPdEEvT1_T3_llPT2_llS4_lS3_lPT0_l
                                        ; -- End function
	.set _ZN9rocsolver6v33100L18larfg_kernel_smallILi256EdldPdEEvT1_T3_llPT2_llS4_lS3_lPT0_l.num_vgpr, 25
	.set _ZN9rocsolver6v33100L18larfg_kernel_smallILi256EdldPdEEvT1_T3_llPT2_llS4_lS3_lPT0_l.num_agpr, 0
	.set _ZN9rocsolver6v33100L18larfg_kernel_smallILi256EdldPdEEvT1_T3_llPT2_llS4_lS3_lPT0_l.numbered_sgpr, 37
	.set _ZN9rocsolver6v33100L18larfg_kernel_smallILi256EdldPdEEvT1_T3_llPT2_llS4_lS3_lPT0_l.num_named_barrier, 0
	.set _ZN9rocsolver6v33100L18larfg_kernel_smallILi256EdldPdEEvT1_T3_llPT2_llS4_lS3_lPT0_l.private_seg_size, 0
	.set _ZN9rocsolver6v33100L18larfg_kernel_smallILi256EdldPdEEvT1_T3_llPT2_llS4_lS3_lPT0_l.uses_vcc, 1
	.set _ZN9rocsolver6v33100L18larfg_kernel_smallILi256EdldPdEEvT1_T3_llPT2_llS4_lS3_lPT0_l.uses_flat_scratch, 0
	.set _ZN9rocsolver6v33100L18larfg_kernel_smallILi256EdldPdEEvT1_T3_llPT2_llS4_lS3_lPT0_l.has_dyn_sized_stack, 0
	.set _ZN9rocsolver6v33100L18larfg_kernel_smallILi256EdldPdEEvT1_T3_llPT2_llS4_lS3_lPT0_l.has_recursion, 0
	.set _ZN9rocsolver6v33100L18larfg_kernel_smallILi256EdldPdEEvT1_T3_llPT2_llS4_lS3_lPT0_l.has_indirect_call, 0
	.section	.AMDGPU.csdata,"",@progbits
; Kernel info:
; codeLenInByte = 1488
; TotalNumSgprs: 43
; NumVgprs: 25
; NumAgprs: 0
; TotalNumVgprs: 25
; ScratchSize: 0
; MemoryBound: 0
; FloatMode: 240
; IeeeMode: 1
; LDSByteSize: 32 bytes/workgroup (compile time only)
; SGPRBlocks: 5
; VGPRBlocks: 3
; NumSGPRsForWavesPerEU: 43
; NumVGPRsForWavesPerEU: 25
; AccumOffset: 28
; Occupancy: 8
; WaveLimiterHint : 0
; COMPUTE_PGM_RSRC2:SCRATCH_EN: 0
; COMPUTE_PGM_RSRC2:USER_SGPR: 2
; COMPUTE_PGM_RSRC2:TRAP_HANDLER: 0
; COMPUTE_PGM_RSRC2:TGID_X_EN: 1
; COMPUTE_PGM_RSRC2:TGID_Y_EN: 0
; COMPUTE_PGM_RSRC2:TGID_Z_EN: 1
; COMPUTE_PGM_RSRC2:TIDIG_COMP_CNT: 0
; COMPUTE_PGM_RSRC3_GFX90A:ACCUM_OFFSET: 6
; COMPUTE_PGM_RSRC3_GFX90A:TG_SPLIT: 0
	.section	.text._ZN9rocsolver6v33100L18larfg_kernel_smallILi512EdldPdEEvT1_T3_llPT2_llS4_lS3_lPT0_l,"axG",@progbits,_ZN9rocsolver6v33100L18larfg_kernel_smallILi512EdldPdEEvT1_T3_llPT2_llS4_lS3_lPT0_l,comdat
	.globl	_ZN9rocsolver6v33100L18larfg_kernel_smallILi512EdldPdEEvT1_T3_llPT2_llS4_lS3_lPT0_l ; -- Begin function _ZN9rocsolver6v33100L18larfg_kernel_smallILi512EdldPdEEvT1_T3_llPT2_llS4_lS3_lPT0_l
	.p2align	8
	.type	_ZN9rocsolver6v33100L18larfg_kernel_smallILi512EdldPdEEvT1_T3_llPT2_llS4_lS3_lPT0_l,@function
_ZN9rocsolver6v33100L18larfg_kernel_smallILi512EdldPdEEvT1_T3_llPT2_llS4_lS3_lPT0_l: ; @_ZN9rocsolver6v33100L18larfg_kernel_smallILi512EdldPdEEvT1_T3_llPT2_llS4_lS3_lPT0_l
; %bb.0:
	s_load_dwordx16 s[4:19], s[0:1], 0x0
	s_mov_b64 s[28:29], 0
	s_waitcnt lgkmcnt(0)
	s_cmp_eq_u64 s[12:13], 0
	s_cbranch_scc1 .LBB13_2
; %bb.1:
	s_mul_i32 s2, s17, s3
	s_mul_hi_u32 s17, s16, s3
	s_add_i32 s17, s17, s2
	s_mul_i32 s16, s16, s3
	s_lshl_b64 s[16:17], s[16:17], 3
	s_add_u32 s2, s12, s16
	s_addc_u32 s16, s13, s17
	s_lshl_b64 s[12:13], s[14:15], 3
	s_add_u32 s28, s2, s12
	s_addc_u32 s29, s16, s13
.LBB13_2:
	s_load_dwordx8 s[20:27], s[0:1], 0x40
	s_load_dwordx2 s[16:17], s[0:1], 0x60
	s_add_u32 s4, s4, -1
	v_mov_b32_e32 v1, 0
	s_addc_u32 s5, s5, -1
	v_cmp_gt_i64_e64 s[0:1], s[4:5], v[0:1]
	v_mov_b64_e32 v[2:3], 0
	s_waitcnt lgkmcnt(0)
	s_mul_i32 s33, s25, s3
	s_mul_hi_u32 s36, s24, s3
	s_mul_i32 s12, s24, s3
	s_and_saveexec_b64 s[14:15], s[0:1]
	s_cbranch_execz .LBB13_6
; %bb.3:
	v_mad_u64_u32 v[2:3], s[30:31], s22, v0, 0
	v_mov_b32_e32 v4, v3
	s_add_i32 s13, s36, s33
	v_mad_u64_u32 v[4:5], s[30:31], s23, v0, v[4:5]
	s_lshl_b64 s[24:25], s[12:13], 3
	s_lshl_b64 s[30:31], s[20:21], 3
	s_add_u32 s2, s18, s30
	s_addc_u32 s13, s19, s31
	s_add_u32 s24, s2, s24
	v_mov_b32_e32 v3, v4
	s_addc_u32 s25, s13, s25
	v_lshl_add_u64 v[4:5], v[2:3], 3, s[24:25]
	s_lshl_b64 s[24:25], s[22:23], 12
	v_mov_b64_e32 v[2:3], 0
	s_mov_b64 s[30:31], 0
	s_mov_b64 s[34:35], 0x200
	v_mov_b64_e32 v[6:7], v[0:1]
.LBB13_4:                               ; =>This Inner Loop Header: Depth=1
	global_load_dwordx2 v[8:9], v[4:5], off
	v_lshl_add_u64 v[6:7], v[6:7], 0, s[34:35]
	v_cmp_le_i64_e32 vcc, s[4:5], v[6:7]
	v_lshl_add_u64 v[4:5], v[4:5], 0, s[24:25]
	s_or_b64 s[30:31], vcc, s[30:31]
	s_waitcnt vmcnt(0)
	v_fmac_f64_e32 v[2:3], v[8:9], v[8:9]
	s_andn2_b64 exec, exec, s[30:31]
	s_cbranch_execnz .LBB13_4
; %bb.5:
	s_or_b64 exec, exec, s[30:31]
.LBB13_6:
	s_or_b64 exec, exec, s[14:15]
	v_mbcnt_lo_u32_b32 v4, -1, 0
	v_mbcnt_hi_u32_b32 v6, -1, v4
	v_and_b32_e32 v7, 63, v6
	v_cmp_ne_u32_e32 vcc, 63, v7
	s_nop 1
	v_addc_co_u32_e32 v4, vcc, 0, v6, vcc
	v_lshlrev_b32_e32 v5, 2, v4
	ds_bpermute_b32 v4, v5, v2
	ds_bpermute_b32 v5, v5, v3
	v_cmp_gt_u32_e32 vcc, 62, v7
	s_waitcnt lgkmcnt(0)
	v_add_f64 v[2:3], v[2:3], v[4:5]
	v_cndmask_b32_e64 v4, 0, 2, vcc
	v_add_lshl_u32 v5, v4, v6, 2
	ds_bpermute_b32 v4, v5, v2
	ds_bpermute_b32 v5, v5, v3
	v_cmp_gt_u32_e32 vcc, 60, v7
	s_waitcnt lgkmcnt(0)
	v_add_f64 v[2:3], v[2:3], v[4:5]
	v_cndmask_b32_e64 v4, 0, 4, vcc
	v_add_lshl_u32 v5, v4, v6, 2
	;; [unrolled: 7-line block ×3, first 2 shown]
	ds_bpermute_b32 v4, v5, v2
	ds_bpermute_b32 v5, v5, v3
	v_cmp_gt_u32_e32 vcc, 48, v7
	v_mov_b32_e32 v7, 0x80
	s_waitcnt lgkmcnt(0)
	v_add_f64 v[2:3], v[2:3], v[4:5]
	v_cndmask_b32_e64 v4, 0, 16, vcc
	v_add_lshl_u32 v5, v4, v6, 2
	ds_bpermute_b32 v4, v5, v2
	ds_bpermute_b32 v5, v5, v3
	s_waitcnt lgkmcnt(0)
	v_add_f64 v[2:3], v[2:3], v[4:5]
	v_lshl_or_b32 v5, v6, 2, v7
	ds_bpermute_b32 v4, v5, v2
	ds_bpermute_b32 v5, v5, v3
	v_and_b32_e32 v6, 63, v0
	v_cmp_eq_u32_e32 vcc, 0, v6
	s_waitcnt lgkmcnt(0)
	v_add_f64 v[2:3], v[2:3], v[4:5]
	s_and_saveexec_b64 s[14:15], vcc
; %bb.7:
	v_lshrrev_b32_e32 v4, 3, v0
	ds_write_b64 v4, v[2:3]
; %bb.8:
	s_or_b64 exec, exec, s[14:15]
	v_cmp_eq_u32_e32 vcc, 0, v0
	s_waitcnt lgkmcnt(0)
	s_barrier
	s_and_saveexec_b64 s[14:15], vcc
	s_cbranch_execz .LBB13_10
; %bb.9:
	v_mov_b32_e32 v16, 0
	ds_read2_b64 v[4:7], v16 offset0:1 offset1:2
	ds_read2_b64 v[8:11], v16 offset0:3 offset1:4
	;; [unrolled: 1-line block ×3, first 2 shown]
	s_waitcnt lgkmcnt(2)
	v_add_f64 v[2:3], v[2:3], v[4:5]
	v_add_f64 v[2:3], v[2:3], v[6:7]
	ds_read_b64 v[4:5], v16 offset:56
	s_waitcnt lgkmcnt(2)
	v_add_f64 v[2:3], v[2:3], v[8:9]
	v_add_f64 v[2:3], v[2:3], v[10:11]
	s_waitcnt lgkmcnt(1)
	v_add_f64 v[2:3], v[2:3], v[12:13]
	v_add_f64 v[2:3], v[2:3], v[14:15]
	s_waitcnt lgkmcnt(0)
	v_add_f64 v[2:3], v[2:3], v[4:5]
	ds_write_b64 v16, v[2:3]
.LBB13_10:
	s_or_b64 exec, exec, s[14:15]
	s_waitcnt lgkmcnt(0)
	s_barrier
	s_and_saveexec_b64 s[14:15], vcc
	s_cbranch_execz .LBB13_20
; %bb.11:
	s_mul_i32 s2, s11, s3
	s_mul_hi_u32 s11, s10, s3
	s_add_i32 s11, s11, s2
	s_mul_i32 s10, s10, s3
	s_lshl_b64 s[10:11], s[10:11], 3
	s_add_u32 s2, s6, s10
	s_addc_u32 s10, s7, s11
	s_lshl_b64 s[6:7], s[8:9], 3
	s_add_u32 s6, s2, s6
	s_mul_i32 s2, s17, s3
	s_mul_hi_u32 s8, s16, s3
	v_mov_b32_e32 v2, 0
	s_addc_u32 s7, s10, s7
	s_add_i32 s9, s8, s2
	s_mul_i32 s8, s16, s3
	ds_read_b64 v[4:5], v2
	s_lshl_b64 s[2:3], s[8:9], 3
	s_add_u32 s8, s26, s2
	s_addc_u32 s9, s27, s3
	s_cmp_eq_u64 s[28:29], 0
	s_cselect_b64 s[2:3], -1, 0
	s_cmp_lg_u64 s[28:29], 0
	s_waitcnt lgkmcnt(0)
	v_cmp_nlt_f64_e32 vcc, 0, v[4:5]
	s_mov_b64 s[16:17], 0
	s_cselect_b64 s[10:11], -1, 0
	s_cbranch_vccz .LBB13_14
; %bb.12:
	v_mov_b32_e32 v3, 0x3ff00000
	ds_write_b64 v2, v[2:3]
	v_mov_b32_e32 v3, v2
	s_mov_b64 s[26:27], 0
	s_and_b64 vcc, exec, s[10:11]
	global_store_dwordx2 v2, v[2:3], s[8:9]
	s_cbranch_vccz .LBB13_15
; %bb.13:
	v_mov_b32_e32 v2, 0
	global_load_dwordx2 v[2:3], v2, s[6:7]
	s_mov_b64 s[24:25], -1
	s_and_b64 vcc, exec, s[26:27]
	s_cbranch_vccnz .LBB13_16
	s_branch .LBB13_17
.LBB13_14:
	s_mov_b64 s[26:27], -1
.LBB13_15:
	s_mov_b64 s[24:25], 0
                                        ; implicit-def: $vgpr2_vgpr3
	s_and_b64 vcc, exec, s[26:27]
	s_cbranch_vccz .LBB13_17
.LBB13_16:
	v_mov_b32_e32 v24, 0
	global_load_dwordx2 v[6:7], v24, s[6:7]
	s_mov_b32 s16, 0
	s_brev_b32 s17, 8
	v_mov_b32_e32 v12, 0x260
	s_mov_b64 s[24:25], s[10:11]
	s_waitcnt vmcnt(0)
	v_fmac_f64_e32 v[4:5], v[6:7], v[6:7]
	v_cmp_gt_f64_e32 vcc, s[16:17], v[4:5]
	s_and_b64 s[16:17], vcc, exec
	s_cselect_b32 s13, 0x100, 0
	v_ldexp_f64 v[2:3], v[4:5], s13
	v_rsq_f64_e32 v[4:5], v[2:3]
	s_mov_b64 s[16:17], s[2:3]
	s_cselect_b32 s2, 0xffffff80, 0
	v_cmp_class_f64_e32 vcc, v[2:3], v12
	v_mul_f64 v[8:9], v[2:3], v[4:5]
	v_mul_f64 v[4:5], v[4:5], 0.5
	v_fma_f64 v[10:11], -v[4:5], v[8:9], 0.5
	v_fmac_f64_e32 v[8:9], v[8:9], v[10:11]
	v_fmac_f64_e32 v[4:5], v[4:5], v[10:11]
	v_fma_f64 v[10:11], -v[8:9], v[8:9], v[2:3]
	v_fmac_f64_e32 v[8:9], v[10:11], v[4:5]
	v_fma_f64 v[10:11], -v[8:9], v[8:9], v[2:3]
	v_fmac_f64_e32 v[8:9], v[10:11], v[4:5]
	v_ldexp_f64 v[4:5], v[8:9], s2
	v_cndmask_b32_e32 v3, v5, v3, vcc
	v_cndmask_b32_e32 v2, v4, v2, vcc
	v_xor_b32_e32 v4, 0x80000000, v3
	v_cmp_le_f64_e32 vcc, 0, v[6:7]
	s_nop 1
	v_cndmask_b32_e32 v3, v3, v4, vcc
	v_add_f64 v[4:5], v[6:7], -v[2:3]
	v_add_f64 v[6:7], v[2:3], -v[6:7]
	v_div_scale_f64 v[8:9], s[2:3], v[4:5], v[4:5], 1.0
	v_div_scale_f64 v[12:13], s[2:3], v[2:3], v[2:3], v[6:7]
	v_rcp_f64_e32 v[14:15], v[8:9]
	v_rcp_f64_e32 v[16:17], v[12:13]
	v_div_scale_f64 v[10:11], vcc, 1.0, v[4:5], 1.0
	v_fma_f64 v[20:21], -v[8:9], v[14:15], 1.0
	v_fma_f64 v[22:23], -v[12:13], v[16:17], 1.0
	v_fmac_f64_e32 v[14:15], v[14:15], v[20:21]
	v_fmac_f64_e32 v[16:17], v[16:17], v[22:23]
	v_fma_f64 v[20:21], -v[8:9], v[14:15], 1.0
	v_fma_f64 v[22:23], -v[12:13], v[16:17], 1.0
	v_fmac_f64_e32 v[14:15], v[14:15], v[20:21]
	v_div_scale_f64 v[18:19], s[2:3], v[6:7], v[2:3], v[6:7]
	v_fmac_f64_e32 v[16:17], v[16:17], v[22:23]
	v_mul_f64 v[20:21], v[10:11], v[14:15]
	v_mul_f64 v[22:23], v[18:19], v[16:17]
	v_fma_f64 v[8:9], -v[8:9], v[20:21], v[10:11]
	v_fma_f64 v[10:11], -v[12:13], v[22:23], v[18:19]
	v_div_fmas_f64 v[8:9], v[8:9], v[14:15], v[20:21]
	s_mov_b64 vcc, s[2:3]
	v_div_fixup_f64 v[4:5], v[8:9], v[4:5], 1.0
	v_div_fmas_f64 v[8:9], v[10:11], v[16:17], v[22:23]
	ds_write_b64 v24, v[4:5]
	v_div_fixup_f64 v[4:5], v[8:9], v[2:3], v[6:7]
	global_store_dwordx2 v24, v[4:5], s[8:9]
.LBB13_17:
	s_andn2_b64 vcc, exec, s[24:25]
	s_cbranch_vccz .LBB13_24
; %bb.18:
	s_andn2_b64 vcc, exec, s[16:17]
	s_cbranch_vccnz .LBB13_20
.LBB13_19:
	v_mov_b32_e32 v4, 0
	s_waitcnt vmcnt(0)
	global_store_dwordx2 v4, v[2:3], s[6:7]
.LBB13_20:
	s_or_b64 exec, exec, s[14:15]
	s_waitcnt lgkmcnt(0)
	s_barrier
	s_and_saveexec_b64 s[2:3], s[0:1]
	s_cbranch_execz .LBB13_23
; %bb.21:
	v_mad_u64_u32 v[4:5], s[2:3], s22, v0, 0
	v_mov_b32_e32 v6, v5
	s_add_i32 s13, s36, s33
	v_mad_u64_u32 v[6:7], s[2:3], s23, v0, v[6:7]
	s_waitcnt vmcnt(0)
	v_mov_b32_e32 v2, 0
	s_lshl_b64 s[0:1], s[12:13], 3
	s_lshl_b64 s[2:3], s[20:21], 3
	ds_read_b64 v[2:3], v2
	s_add_u32 s2, s18, s2
	s_addc_u32 s3, s19, s3
	s_add_u32 s0, s2, s0
	v_mov_b32_e32 v5, v6
	s_addc_u32 s1, s3, s1
	v_lshl_add_u64 v[4:5], v[4:5], 3, s[0:1]
	s_lshl_b64 s[0:1], s[22:23], 12
	s_mov_b64 s[2:3], 0
	s_mov_b64 s[6:7], 0x200
.LBB13_22:                              ; =>This Inner Loop Header: Depth=1
	global_load_dwordx2 v[6:7], v[4:5], off
	v_lshl_add_u64 v[0:1], v[0:1], 0, s[6:7]
	v_cmp_le_i64_e32 vcc, s[4:5], v[0:1]
	s_or_b64 s[2:3], vcc, s[2:3]
	s_waitcnt vmcnt(0) lgkmcnt(0)
	v_mul_f64 v[6:7], v[2:3], v[6:7]
	global_store_dwordx2 v[4:5], v[6:7], off
	v_lshl_add_u64 v[4:5], v[4:5], 0, s[0:1]
	s_andn2_b64 exec, exec, s[2:3]
	s_cbranch_execnz .LBB13_22
.LBB13_23:
	s_endpgm
.LBB13_24:
	v_mov_b32_e32 v4, 0
	s_waitcnt vmcnt(0)
	global_store_dwordx2 v4, v[2:3], s[28:29]
	v_mov_b64_e32 v[2:3], 1.0
	s_branch .LBB13_19
	.section	.rodata,"a",@progbits
	.p2align	6, 0x0
	.amdhsa_kernel _ZN9rocsolver6v33100L18larfg_kernel_smallILi512EdldPdEEvT1_T3_llPT2_llS4_lS3_lPT0_l
		.amdhsa_group_segment_fixed_size 64
		.amdhsa_private_segment_fixed_size 0
		.amdhsa_kernarg_size 104
		.amdhsa_user_sgpr_count 2
		.amdhsa_user_sgpr_dispatch_ptr 0
		.amdhsa_user_sgpr_queue_ptr 0
		.amdhsa_user_sgpr_kernarg_segment_ptr 1
		.amdhsa_user_sgpr_dispatch_id 0
		.amdhsa_user_sgpr_kernarg_preload_length 0
		.amdhsa_user_sgpr_kernarg_preload_offset 0
		.amdhsa_user_sgpr_private_segment_size 0
		.amdhsa_uses_dynamic_stack 0
		.amdhsa_enable_private_segment 0
		.amdhsa_system_sgpr_workgroup_id_x 1
		.amdhsa_system_sgpr_workgroup_id_y 0
		.amdhsa_system_sgpr_workgroup_id_z 1
		.amdhsa_system_sgpr_workgroup_info 0
		.amdhsa_system_vgpr_workitem_id 0
		.amdhsa_next_free_vgpr 25
		.amdhsa_next_free_sgpr 37
		.amdhsa_accum_offset 28
		.amdhsa_reserve_vcc 1
		.amdhsa_float_round_mode_32 0
		.amdhsa_float_round_mode_16_64 0
		.amdhsa_float_denorm_mode_32 3
		.amdhsa_float_denorm_mode_16_64 3
		.amdhsa_dx10_clamp 1
		.amdhsa_ieee_mode 1
		.amdhsa_fp16_overflow 0
		.amdhsa_tg_split 0
		.amdhsa_exception_fp_ieee_invalid_op 0
		.amdhsa_exception_fp_denorm_src 0
		.amdhsa_exception_fp_ieee_div_zero 0
		.amdhsa_exception_fp_ieee_overflow 0
		.amdhsa_exception_fp_ieee_underflow 0
		.amdhsa_exception_fp_ieee_inexact 0
		.amdhsa_exception_int_div_zero 0
	.end_amdhsa_kernel
	.section	.text._ZN9rocsolver6v33100L18larfg_kernel_smallILi512EdldPdEEvT1_T3_llPT2_llS4_lS3_lPT0_l,"axG",@progbits,_ZN9rocsolver6v33100L18larfg_kernel_smallILi512EdldPdEEvT1_T3_llPT2_llS4_lS3_lPT0_l,comdat
.Lfunc_end13:
	.size	_ZN9rocsolver6v33100L18larfg_kernel_smallILi512EdldPdEEvT1_T3_llPT2_llS4_lS3_lPT0_l, .Lfunc_end13-_ZN9rocsolver6v33100L18larfg_kernel_smallILi512EdldPdEEvT1_T3_llPT2_llS4_lS3_lPT0_l
                                        ; -- End function
	.set _ZN9rocsolver6v33100L18larfg_kernel_smallILi512EdldPdEEvT1_T3_llPT2_llS4_lS3_lPT0_l.num_vgpr, 25
	.set _ZN9rocsolver6v33100L18larfg_kernel_smallILi512EdldPdEEvT1_T3_llPT2_llS4_lS3_lPT0_l.num_agpr, 0
	.set _ZN9rocsolver6v33100L18larfg_kernel_smallILi512EdldPdEEvT1_T3_llPT2_llS4_lS3_lPT0_l.numbered_sgpr, 37
	.set _ZN9rocsolver6v33100L18larfg_kernel_smallILi512EdldPdEEvT1_T3_llPT2_llS4_lS3_lPT0_l.num_named_barrier, 0
	.set _ZN9rocsolver6v33100L18larfg_kernel_smallILi512EdldPdEEvT1_T3_llPT2_llS4_lS3_lPT0_l.private_seg_size, 0
	.set _ZN9rocsolver6v33100L18larfg_kernel_smallILi512EdldPdEEvT1_T3_llPT2_llS4_lS3_lPT0_l.uses_vcc, 1
	.set _ZN9rocsolver6v33100L18larfg_kernel_smallILi512EdldPdEEvT1_T3_llPT2_llS4_lS3_lPT0_l.uses_flat_scratch, 0
	.set _ZN9rocsolver6v33100L18larfg_kernel_smallILi512EdldPdEEvT1_T3_llPT2_llS4_lS3_lPT0_l.has_dyn_sized_stack, 0
	.set _ZN9rocsolver6v33100L18larfg_kernel_smallILi512EdldPdEEvT1_T3_llPT2_llS4_lS3_lPT0_l.has_recursion, 0
	.set _ZN9rocsolver6v33100L18larfg_kernel_smallILi512EdldPdEEvT1_T3_llPT2_llS4_lS3_lPT0_l.has_indirect_call, 0
	.section	.AMDGPU.csdata,"",@progbits
; Kernel info:
; codeLenInByte = 1544
; TotalNumSgprs: 43
; NumVgprs: 25
; NumAgprs: 0
; TotalNumVgprs: 25
; ScratchSize: 0
; MemoryBound: 0
; FloatMode: 240
; IeeeMode: 1
; LDSByteSize: 64 bytes/workgroup (compile time only)
; SGPRBlocks: 5
; VGPRBlocks: 3
; NumSGPRsForWavesPerEU: 43
; NumVGPRsForWavesPerEU: 25
; AccumOffset: 28
; Occupancy: 8
; WaveLimiterHint : 0
; COMPUTE_PGM_RSRC2:SCRATCH_EN: 0
; COMPUTE_PGM_RSRC2:USER_SGPR: 2
; COMPUTE_PGM_RSRC2:TRAP_HANDLER: 0
; COMPUTE_PGM_RSRC2:TGID_X_EN: 1
; COMPUTE_PGM_RSRC2:TGID_Y_EN: 0
; COMPUTE_PGM_RSRC2:TGID_Z_EN: 1
; COMPUTE_PGM_RSRC2:TIDIG_COMP_CNT: 0
; COMPUTE_PGM_RSRC3_GFX90A:ACCUM_OFFSET: 6
; COMPUTE_PGM_RSRC3_GFX90A:TG_SPLIT: 0
	.section	.text._ZN9rocsolver6v33100L18larfg_kernel_smallILi1024EdldPdEEvT1_T3_llPT2_llS4_lS3_lPT0_l,"axG",@progbits,_ZN9rocsolver6v33100L18larfg_kernel_smallILi1024EdldPdEEvT1_T3_llPT2_llS4_lS3_lPT0_l,comdat
	.globl	_ZN9rocsolver6v33100L18larfg_kernel_smallILi1024EdldPdEEvT1_T3_llPT2_llS4_lS3_lPT0_l ; -- Begin function _ZN9rocsolver6v33100L18larfg_kernel_smallILi1024EdldPdEEvT1_T3_llPT2_llS4_lS3_lPT0_l
	.p2align	8
	.type	_ZN9rocsolver6v33100L18larfg_kernel_smallILi1024EdldPdEEvT1_T3_llPT2_llS4_lS3_lPT0_l,@function
_ZN9rocsolver6v33100L18larfg_kernel_smallILi1024EdldPdEEvT1_T3_llPT2_llS4_lS3_lPT0_l: ; @_ZN9rocsolver6v33100L18larfg_kernel_smallILi1024EdldPdEEvT1_T3_llPT2_llS4_lS3_lPT0_l
; %bb.0:
	s_load_dwordx16 s[4:19], s[0:1], 0x0
	s_mov_b64 s[28:29], 0
	s_waitcnt lgkmcnt(0)
	s_cmp_eq_u64 s[12:13], 0
	s_cbranch_scc1 .LBB14_2
; %bb.1:
	s_mul_i32 s2, s17, s3
	s_mul_hi_u32 s17, s16, s3
	s_add_i32 s17, s17, s2
	s_mul_i32 s16, s16, s3
	s_lshl_b64 s[16:17], s[16:17], 3
	s_add_u32 s2, s12, s16
	s_addc_u32 s16, s13, s17
	s_lshl_b64 s[12:13], s[14:15], 3
	s_add_u32 s28, s2, s12
	s_addc_u32 s29, s16, s13
.LBB14_2:
	s_load_dwordx8 s[20:27], s[0:1], 0x40
	s_load_dwordx2 s[14:15], s[0:1], 0x60
	s_add_u32 s4, s4, -1
	v_mov_b32_e32 v1, 0
	s_addc_u32 s5, s5, -1
	v_cmp_gt_i64_e64 s[0:1], s[4:5], v[0:1]
	v_mov_b64_e32 v[2:3], 0
	s_waitcnt lgkmcnt(0)
	s_mul_i32 s33, s25, s3
	s_mul_hi_u32 s36, s24, s3
	s_mul_i32 s12, s24, s3
	s_and_saveexec_b64 s[16:17], s[0:1]
	s_cbranch_execz .LBB14_6
; %bb.3:
	v_mad_u64_u32 v[2:3], s[30:31], s22, v0, 0
	v_mov_b32_e32 v4, v3
	s_add_i32 s13, s36, s33
	v_mad_u64_u32 v[4:5], s[30:31], s23, v0, v[4:5]
	s_lshl_b64 s[24:25], s[12:13], 3
	s_lshl_b64 s[30:31], s[20:21], 3
	s_add_u32 s2, s18, s30
	s_addc_u32 s13, s19, s31
	s_add_u32 s24, s2, s24
	v_mov_b32_e32 v3, v4
	s_addc_u32 s25, s13, s25
	v_lshl_add_u64 v[4:5], v[2:3], 3, s[24:25]
	s_lshl_b64 s[24:25], s[22:23], 13
	v_mov_b64_e32 v[2:3], 0
	s_mov_b64 s[30:31], 0
	s_mov_b64 s[34:35], 0x400
	v_mov_b64_e32 v[6:7], v[0:1]
.LBB14_4:                               ; =>This Inner Loop Header: Depth=1
	global_load_dwordx2 v[8:9], v[4:5], off
	v_lshl_add_u64 v[6:7], v[6:7], 0, s[34:35]
	v_cmp_le_i64_e32 vcc, s[4:5], v[6:7]
	v_lshl_add_u64 v[4:5], v[4:5], 0, s[24:25]
	s_or_b64 s[30:31], vcc, s[30:31]
	s_waitcnt vmcnt(0)
	v_fmac_f64_e32 v[2:3], v[8:9], v[8:9]
	s_andn2_b64 exec, exec, s[30:31]
	s_cbranch_execnz .LBB14_4
; %bb.5:
	s_or_b64 exec, exec, s[30:31]
.LBB14_6:
	s_or_b64 exec, exec, s[16:17]
	v_mbcnt_lo_u32_b32 v4, -1, 0
	v_mbcnt_hi_u32_b32 v6, -1, v4
	v_and_b32_e32 v7, 63, v6
	v_cmp_ne_u32_e32 vcc, 63, v7
	s_nop 1
	v_addc_co_u32_e32 v4, vcc, 0, v6, vcc
	v_lshlrev_b32_e32 v5, 2, v4
	ds_bpermute_b32 v4, v5, v2
	ds_bpermute_b32 v5, v5, v3
	v_cmp_gt_u32_e32 vcc, 62, v7
	s_waitcnt lgkmcnt(0)
	v_add_f64 v[2:3], v[2:3], v[4:5]
	v_cndmask_b32_e64 v4, 0, 2, vcc
	v_add_lshl_u32 v5, v4, v6, 2
	ds_bpermute_b32 v4, v5, v2
	ds_bpermute_b32 v5, v5, v3
	v_cmp_gt_u32_e32 vcc, 60, v7
	s_waitcnt lgkmcnt(0)
	v_add_f64 v[2:3], v[2:3], v[4:5]
	v_cndmask_b32_e64 v4, 0, 4, vcc
	v_add_lshl_u32 v5, v4, v6, 2
	ds_bpermute_b32 v4, v5, v2
	ds_bpermute_b32 v5, v5, v3
	v_cmp_gt_u32_e32 vcc, 56, v7
	s_waitcnt lgkmcnt(0)
	v_add_f64 v[2:3], v[2:3], v[4:5]
	v_cndmask_b32_e64 v4, 0, 8, vcc
	v_add_lshl_u32 v5, v4, v6, 2
	ds_bpermute_b32 v4, v5, v2
	ds_bpermute_b32 v5, v5, v3
	v_cmp_gt_u32_e32 vcc, 48, v7
	v_mov_b32_e32 v7, 0x80
	s_waitcnt lgkmcnt(0)
	v_add_f64 v[2:3], v[2:3], v[4:5]
	v_cndmask_b32_e64 v4, 0, 16, vcc
	v_add_lshl_u32 v5, v4, v6, 2
	ds_bpermute_b32 v4, v5, v2
	ds_bpermute_b32 v5, v5, v3
	s_waitcnt lgkmcnt(0)
	v_add_f64 v[2:3], v[2:3], v[4:5]
	v_lshl_or_b32 v5, v6, 2, v7
	ds_bpermute_b32 v4, v5, v2
	ds_bpermute_b32 v5, v5, v3
	v_and_b32_e32 v6, 63, v0
	v_cmp_eq_u32_e32 vcc, 0, v6
	s_waitcnt lgkmcnt(0)
	v_add_f64 v[2:3], v[2:3], v[4:5]
	s_and_saveexec_b64 s[16:17], vcc
; %bb.7:
	v_lshrrev_b32_e32 v4, 3, v0
	ds_write_b64 v4, v[2:3]
; %bb.8:
	s_or_b64 exec, exec, s[16:17]
	v_cmp_eq_u32_e32 vcc, 0, v0
	s_waitcnt lgkmcnt(0)
	s_barrier
	s_and_saveexec_b64 s[16:17], vcc
	s_cbranch_execz .LBB14_10
; %bb.9:
	v_mov_b32_e32 v24, 0
	ds_read2_b64 v[4:7], v24 offset0:1 offset1:2
	ds_read2_b64 v[8:11], v24 offset0:3 offset1:4
	;; [unrolled: 1-line block ×5, first 2 shown]
	s_waitcnt lgkmcnt(4)
	v_add_f64 v[2:3], v[2:3], v[4:5]
	v_add_f64 v[2:3], v[2:3], v[6:7]
	s_waitcnt lgkmcnt(3)
	v_add_f64 v[2:3], v[2:3], v[8:9]
	v_add_f64 v[2:3], v[2:3], v[10:11]
	;; [unrolled: 3-line block ×4, first 2 shown]
	ds_read2_b64 v[2:5], v24 offset0:11 offset1:12
	s_waitcnt lgkmcnt(1)
	v_add_f64 v[10:11], v[6:7], v[20:21]
	ds_read2_b64 v[6:9], v24 offset0:13 offset1:14
	v_add_f64 v[10:11], v[10:11], v[22:23]
	ds_read_b64 v[12:13], v24 offset:120
	s_waitcnt lgkmcnt(2)
	v_add_f64 v[2:3], v[10:11], v[2:3]
	v_add_f64 v[2:3], v[2:3], v[4:5]
	s_waitcnt lgkmcnt(1)
	v_add_f64 v[2:3], v[2:3], v[6:7]
	v_add_f64 v[2:3], v[2:3], v[8:9]
	s_waitcnt lgkmcnt(0)
	v_add_f64 v[2:3], v[2:3], v[12:13]
	ds_write_b64 v24, v[2:3]
.LBB14_10:
	s_or_b64 exec, exec, s[16:17]
	s_waitcnt lgkmcnt(0)
	s_barrier
	s_and_saveexec_b64 s[16:17], vcc
	s_cbranch_execz .LBB14_20
; %bb.11:
	s_mul_i32 s2, s11, s3
	s_mul_hi_u32 s11, s10, s3
	s_add_i32 s11, s11, s2
	s_mul_i32 s10, s10, s3
	s_lshl_b64 s[10:11], s[10:11], 3
	s_add_u32 s2, s6, s10
	s_addc_u32 s10, s7, s11
	s_lshl_b64 s[6:7], s[8:9], 3
	s_add_u32 s6, s2, s6
	s_mul_i32 s2, s15, s3
	s_mul_hi_u32 s8, s14, s3
	v_mov_b32_e32 v2, 0
	s_addc_u32 s7, s10, s7
	s_add_i32 s9, s8, s2
	s_mul_i32 s8, s14, s3
	ds_read_b64 v[4:5], v2
	s_lshl_b64 s[2:3], s[8:9], 3
	s_add_u32 s8, s26, s2
	s_addc_u32 s9, s27, s3
	s_cmp_eq_u64 s[28:29], 0
	s_cselect_b64 s[2:3], -1, 0
	s_cmp_lg_u64 s[28:29], 0
	s_waitcnt lgkmcnt(0)
	v_cmp_nlt_f64_e32 vcc, 0, v[4:5]
	s_mov_b64 s[14:15], 0
	s_cselect_b64 s[10:11], -1, 0
	s_cbranch_vccz .LBB14_14
; %bb.12:
	v_mov_b32_e32 v3, 0x3ff00000
	ds_write_b64 v2, v[2:3]
	v_mov_b32_e32 v3, v2
	s_mov_b64 s[26:27], 0
	s_and_b64 vcc, exec, s[10:11]
	global_store_dwordx2 v2, v[2:3], s[8:9]
	s_cbranch_vccz .LBB14_15
; %bb.13:
	v_mov_b32_e32 v2, 0
	global_load_dwordx2 v[2:3], v2, s[6:7]
	s_mov_b64 s[24:25], -1
	s_and_b64 vcc, exec, s[26:27]
	s_cbranch_vccnz .LBB14_16
	s_branch .LBB14_17
.LBB14_14:
	s_mov_b64 s[26:27], -1
.LBB14_15:
	s_mov_b64 s[24:25], 0
                                        ; implicit-def: $vgpr2_vgpr3
	s_and_b64 vcc, exec, s[26:27]
	s_cbranch_vccz .LBB14_17
.LBB14_16:
	v_mov_b32_e32 v24, 0
	global_load_dwordx2 v[6:7], v24, s[6:7]
	s_mov_b32 s14, 0
	s_brev_b32 s15, 8
	v_mov_b32_e32 v12, 0x260
	s_mov_b64 s[24:25], s[10:11]
	s_waitcnt vmcnt(0)
	v_fmac_f64_e32 v[4:5], v[6:7], v[6:7]
	v_cmp_gt_f64_e32 vcc, s[14:15], v[4:5]
	s_and_b64 s[14:15], vcc, exec
	s_cselect_b32 s13, 0x100, 0
	v_ldexp_f64 v[2:3], v[4:5], s13
	v_rsq_f64_e32 v[4:5], v[2:3]
	s_mov_b64 s[14:15], s[2:3]
	s_cselect_b32 s2, 0xffffff80, 0
	v_cmp_class_f64_e32 vcc, v[2:3], v12
	v_mul_f64 v[8:9], v[2:3], v[4:5]
	v_mul_f64 v[4:5], v[4:5], 0.5
	v_fma_f64 v[10:11], -v[4:5], v[8:9], 0.5
	v_fmac_f64_e32 v[8:9], v[8:9], v[10:11]
	v_fmac_f64_e32 v[4:5], v[4:5], v[10:11]
	v_fma_f64 v[10:11], -v[8:9], v[8:9], v[2:3]
	v_fmac_f64_e32 v[8:9], v[10:11], v[4:5]
	v_fma_f64 v[10:11], -v[8:9], v[8:9], v[2:3]
	v_fmac_f64_e32 v[8:9], v[10:11], v[4:5]
	v_ldexp_f64 v[4:5], v[8:9], s2
	v_cndmask_b32_e32 v3, v5, v3, vcc
	v_cndmask_b32_e32 v2, v4, v2, vcc
	v_xor_b32_e32 v4, 0x80000000, v3
	v_cmp_le_f64_e32 vcc, 0, v[6:7]
	s_nop 1
	v_cndmask_b32_e32 v3, v3, v4, vcc
	v_add_f64 v[4:5], v[6:7], -v[2:3]
	v_add_f64 v[6:7], v[2:3], -v[6:7]
	v_div_scale_f64 v[8:9], s[2:3], v[4:5], v[4:5], 1.0
	v_div_scale_f64 v[12:13], s[2:3], v[2:3], v[2:3], v[6:7]
	v_rcp_f64_e32 v[14:15], v[8:9]
	v_rcp_f64_e32 v[16:17], v[12:13]
	v_div_scale_f64 v[10:11], vcc, 1.0, v[4:5], 1.0
	v_fma_f64 v[20:21], -v[8:9], v[14:15], 1.0
	v_fma_f64 v[22:23], -v[12:13], v[16:17], 1.0
	v_fmac_f64_e32 v[14:15], v[14:15], v[20:21]
	v_fmac_f64_e32 v[16:17], v[16:17], v[22:23]
	v_fma_f64 v[20:21], -v[8:9], v[14:15], 1.0
	v_fma_f64 v[22:23], -v[12:13], v[16:17], 1.0
	v_fmac_f64_e32 v[14:15], v[14:15], v[20:21]
	v_div_scale_f64 v[18:19], s[2:3], v[6:7], v[2:3], v[6:7]
	v_fmac_f64_e32 v[16:17], v[16:17], v[22:23]
	v_mul_f64 v[20:21], v[10:11], v[14:15]
	v_mul_f64 v[22:23], v[18:19], v[16:17]
	v_fma_f64 v[8:9], -v[8:9], v[20:21], v[10:11]
	v_fma_f64 v[10:11], -v[12:13], v[22:23], v[18:19]
	v_div_fmas_f64 v[8:9], v[8:9], v[14:15], v[20:21]
	s_mov_b64 vcc, s[2:3]
	v_div_fixup_f64 v[4:5], v[8:9], v[4:5], 1.0
	v_div_fmas_f64 v[8:9], v[10:11], v[16:17], v[22:23]
	ds_write_b64 v24, v[4:5]
	v_div_fixup_f64 v[4:5], v[8:9], v[2:3], v[6:7]
	global_store_dwordx2 v24, v[4:5], s[8:9]
.LBB14_17:
	s_andn2_b64 vcc, exec, s[24:25]
	s_cbranch_vccz .LBB14_24
; %bb.18:
	s_andn2_b64 vcc, exec, s[14:15]
	s_cbranch_vccnz .LBB14_20
.LBB14_19:
	v_mov_b32_e32 v4, 0
	s_waitcnt vmcnt(0)
	global_store_dwordx2 v4, v[2:3], s[6:7]
.LBB14_20:
	s_or_b64 exec, exec, s[16:17]
	s_waitcnt lgkmcnt(0)
	s_barrier
	s_and_saveexec_b64 s[2:3], s[0:1]
	s_cbranch_execz .LBB14_23
; %bb.21:
	v_mad_u64_u32 v[4:5], s[2:3], s22, v0, 0
	v_mov_b32_e32 v6, v5
	s_add_i32 s13, s36, s33
	v_mad_u64_u32 v[6:7], s[2:3], s23, v0, v[6:7]
	s_waitcnt vmcnt(0)
	v_mov_b32_e32 v2, 0
	s_lshl_b64 s[0:1], s[12:13], 3
	s_lshl_b64 s[2:3], s[20:21], 3
	ds_read_b64 v[2:3], v2
	s_add_u32 s2, s18, s2
	s_addc_u32 s3, s19, s3
	s_add_u32 s0, s2, s0
	v_mov_b32_e32 v5, v6
	s_addc_u32 s1, s3, s1
	v_lshl_add_u64 v[4:5], v[4:5], 3, s[0:1]
	s_lshl_b64 s[0:1], s[22:23], 13
	s_mov_b64 s[2:3], 0
	s_mov_b64 s[6:7], 0x400
.LBB14_22:                              ; =>This Inner Loop Header: Depth=1
	global_load_dwordx2 v[6:7], v[4:5], off
	v_lshl_add_u64 v[0:1], v[0:1], 0, s[6:7]
	v_cmp_le_i64_e32 vcc, s[4:5], v[0:1]
	s_or_b64 s[2:3], vcc, s[2:3]
	s_waitcnt vmcnt(0) lgkmcnt(0)
	v_mul_f64 v[6:7], v[2:3], v[6:7]
	global_store_dwordx2 v[4:5], v[6:7], off
	v_lshl_add_u64 v[4:5], v[4:5], 0, s[0:1]
	s_andn2_b64 exec, exec, s[2:3]
	s_cbranch_execnz .LBB14_22
.LBB14_23:
	s_endpgm
.LBB14_24:
	v_mov_b32_e32 v4, 0
	s_waitcnt vmcnt(0)
	global_store_dwordx2 v4, v[2:3], s[28:29]
	v_mov_b64_e32 v[2:3], 1.0
	s_branch .LBB14_19
	.section	.rodata,"a",@progbits
	.p2align	6, 0x0
	.amdhsa_kernel _ZN9rocsolver6v33100L18larfg_kernel_smallILi1024EdldPdEEvT1_T3_llPT2_llS4_lS3_lPT0_l
		.amdhsa_group_segment_fixed_size 128
		.amdhsa_private_segment_fixed_size 0
		.amdhsa_kernarg_size 104
		.amdhsa_user_sgpr_count 2
		.amdhsa_user_sgpr_dispatch_ptr 0
		.amdhsa_user_sgpr_queue_ptr 0
		.amdhsa_user_sgpr_kernarg_segment_ptr 1
		.amdhsa_user_sgpr_dispatch_id 0
		.amdhsa_user_sgpr_kernarg_preload_length 0
		.amdhsa_user_sgpr_kernarg_preload_offset 0
		.amdhsa_user_sgpr_private_segment_size 0
		.amdhsa_uses_dynamic_stack 0
		.amdhsa_enable_private_segment 0
		.amdhsa_system_sgpr_workgroup_id_x 1
		.amdhsa_system_sgpr_workgroup_id_y 0
		.amdhsa_system_sgpr_workgroup_id_z 1
		.amdhsa_system_sgpr_workgroup_info 0
		.amdhsa_system_vgpr_workitem_id 0
		.amdhsa_next_free_vgpr 25
		.amdhsa_next_free_sgpr 37
		.amdhsa_accum_offset 28
		.amdhsa_reserve_vcc 1
		.amdhsa_float_round_mode_32 0
		.amdhsa_float_round_mode_16_64 0
		.amdhsa_float_denorm_mode_32 3
		.amdhsa_float_denorm_mode_16_64 3
		.amdhsa_dx10_clamp 1
		.amdhsa_ieee_mode 1
		.amdhsa_fp16_overflow 0
		.amdhsa_tg_split 0
		.amdhsa_exception_fp_ieee_invalid_op 0
		.amdhsa_exception_fp_denorm_src 0
		.amdhsa_exception_fp_ieee_div_zero 0
		.amdhsa_exception_fp_ieee_overflow 0
		.amdhsa_exception_fp_ieee_underflow 0
		.amdhsa_exception_fp_ieee_inexact 0
		.amdhsa_exception_int_div_zero 0
	.end_amdhsa_kernel
	.section	.text._ZN9rocsolver6v33100L18larfg_kernel_smallILi1024EdldPdEEvT1_T3_llPT2_llS4_lS3_lPT0_l,"axG",@progbits,_ZN9rocsolver6v33100L18larfg_kernel_smallILi1024EdldPdEEvT1_T3_llPT2_llS4_lS3_lPT0_l,comdat
.Lfunc_end14:
	.size	_ZN9rocsolver6v33100L18larfg_kernel_smallILi1024EdldPdEEvT1_T3_llPT2_llS4_lS3_lPT0_l, .Lfunc_end14-_ZN9rocsolver6v33100L18larfg_kernel_smallILi1024EdldPdEEvT1_T3_llPT2_llS4_lS3_lPT0_l
                                        ; -- End function
	.set _ZN9rocsolver6v33100L18larfg_kernel_smallILi1024EdldPdEEvT1_T3_llPT2_llS4_lS3_lPT0_l.num_vgpr, 25
	.set _ZN9rocsolver6v33100L18larfg_kernel_smallILi1024EdldPdEEvT1_T3_llPT2_llS4_lS3_lPT0_l.num_agpr, 0
	.set _ZN9rocsolver6v33100L18larfg_kernel_smallILi1024EdldPdEEvT1_T3_llPT2_llS4_lS3_lPT0_l.numbered_sgpr, 37
	.set _ZN9rocsolver6v33100L18larfg_kernel_smallILi1024EdldPdEEvT1_T3_llPT2_llS4_lS3_lPT0_l.num_named_barrier, 0
	.set _ZN9rocsolver6v33100L18larfg_kernel_smallILi1024EdldPdEEvT1_T3_llPT2_llS4_lS3_lPT0_l.private_seg_size, 0
	.set _ZN9rocsolver6v33100L18larfg_kernel_smallILi1024EdldPdEEvT1_T3_llPT2_llS4_lS3_lPT0_l.uses_vcc, 1
	.set _ZN9rocsolver6v33100L18larfg_kernel_smallILi1024EdldPdEEvT1_T3_llPT2_llS4_lS3_lPT0_l.uses_flat_scratch, 0
	.set _ZN9rocsolver6v33100L18larfg_kernel_smallILi1024EdldPdEEvT1_T3_llPT2_llS4_lS3_lPT0_l.has_dyn_sized_stack, 0
	.set _ZN9rocsolver6v33100L18larfg_kernel_smallILi1024EdldPdEEvT1_T3_llPT2_llS4_lS3_lPT0_l.has_recursion, 0
	.set _ZN9rocsolver6v33100L18larfg_kernel_smallILi1024EdldPdEEvT1_T3_llPT2_llS4_lS3_lPT0_l.has_indirect_call, 0
	.section	.AMDGPU.csdata,"",@progbits
; Kernel info:
; codeLenInByte = 1656
; TotalNumSgprs: 43
; NumVgprs: 25
; NumAgprs: 0
; TotalNumVgprs: 25
; ScratchSize: 0
; MemoryBound: 0
; FloatMode: 240
; IeeeMode: 1
; LDSByteSize: 128 bytes/workgroup (compile time only)
; SGPRBlocks: 5
; VGPRBlocks: 3
; NumSGPRsForWavesPerEU: 43
; NumVGPRsForWavesPerEU: 25
; AccumOffset: 28
; Occupancy: 8
; WaveLimiterHint : 0
; COMPUTE_PGM_RSRC2:SCRATCH_EN: 0
; COMPUTE_PGM_RSRC2:USER_SGPR: 2
; COMPUTE_PGM_RSRC2:TRAP_HANDLER: 0
; COMPUTE_PGM_RSRC2:TGID_X_EN: 1
; COMPUTE_PGM_RSRC2:TGID_Y_EN: 0
; COMPUTE_PGM_RSRC2:TGID_Z_EN: 1
; COMPUTE_PGM_RSRC2:TIDIG_COMP_CNT: 0
; COMPUTE_PGM_RSRC3_GFX90A:ACCUM_OFFSET: 6
; COMPUTE_PGM_RSRC3_GFX90A:TG_SPLIT: 0
	.section	.text._ZN9rocsolver6v33100L18larfg_kernel_smallILi64EdldPKPdEEvT1_T3_llPT2_llS6_lS5_lPT0_l,"axG",@progbits,_ZN9rocsolver6v33100L18larfg_kernel_smallILi64EdldPKPdEEvT1_T3_llPT2_llS6_lS5_lPT0_l,comdat
	.globl	_ZN9rocsolver6v33100L18larfg_kernel_smallILi64EdldPKPdEEvT1_T3_llPT2_llS6_lS5_lPT0_l ; -- Begin function _ZN9rocsolver6v33100L18larfg_kernel_smallILi64EdldPKPdEEvT1_T3_llPT2_llS6_lS5_lPT0_l
	.p2align	8
	.type	_ZN9rocsolver6v33100L18larfg_kernel_smallILi64EdldPKPdEEvT1_T3_llPT2_llS6_lS5_lPT0_l,@function
_ZN9rocsolver6v33100L18larfg_kernel_smallILi64EdldPKPdEEvT1_T3_llPT2_llS6_lS5_lPT0_l: ; @_ZN9rocsolver6v33100L18larfg_kernel_smallILi64EdldPKPdEEvT1_T3_llPT2_llS6_lS5_lPT0_l
; %bb.0:
	s_mov_b32 s20, s3
	s_load_dwordx4 s[16:19], s[0:1], 0x0
	s_load_dwordx2 s[22:23], s[0:1], 0x10
	s_load_dwordx8 s[4:11], s[0:1], 0x20
	s_load_dwordx4 s[12:15], s[0:1], 0x40
	s_mov_b32 s21, 0
	s_lshl_b64 s[24:25], s[20:21], 3
	s_waitcnt lgkmcnt(0)
	s_add_u32 s2, s18, s24
	s_addc_u32 s3, s19, s25
	s_add_u32 s10, s10, s24
	s_addc_u32 s11, s11, s25
	s_load_dwordx2 s[10:11], s[10:11], 0x0
	s_cmp_eq_u64 s[4:5], 0
	s_mov_b64 s[18:19], 0
	s_cbranch_scc1 .LBB15_2
; %bb.1:
	s_mul_i32 s9, s9, s20
	s_mul_hi_u32 s18, s8, s20
	s_add_i32 s9, s18, s9
	s_mul_i32 s8, s8, s20
	s_lshl_b64 s[8:9], s[8:9], 3
	s_add_u32 s8, s4, s8
	s_addc_u32 s9, s5, s9
	s_lshl_b64 s[4:5], s[6:7], 3
	s_add_u32 s18, s8, s4
	s_addc_u32 s19, s9, s5
.LBB15_2:
	s_load_dwordx2 s[8:9], s[2:3], 0x0
	s_add_u32 s4, s16, -1
	v_mov_b32_e32 v1, 0
	s_addc_u32 s5, s17, -1
	v_cmp_gt_i64_e64 s[2:3], s[4:5], v[0:1]
	v_mov_b64_e32 v[2:3], 0
	s_and_saveexec_b64 s[6:7], s[2:3]
	s_cbranch_execz .LBB15_6
; %bb.3:
	v_mad_u64_u32 v[2:3], s[16:17], s14, v0, 0
	v_mov_b32_e32 v4, v3
	v_mad_u64_u32 v[4:5], s[16:17], s15, v0, v[4:5]
	s_lshl_b64 s[16:17], s[12:13], 3
	s_waitcnt lgkmcnt(0)
	s_add_u32 s16, s10, s16
	v_mov_b32_e32 v3, v4
	s_addc_u32 s17, s11, s17
	v_lshl_add_u64 v[4:5], v[2:3], 3, s[16:17]
	s_lshl_b64 s[16:17], s[14:15], 9
	v_mov_b64_e32 v[2:3], 0
	s_mov_b64 s[24:25], 0
	v_mov_b64_e32 v[6:7], v[0:1]
.LBB15_4:                               ; =>This Inner Loop Header: Depth=1
	flat_load_dwordx2 v[8:9], v[4:5]
	v_lshl_add_u64 v[6:7], v[6:7], 0, 64
	v_cmp_le_i64_e32 vcc, s[4:5], v[6:7]
	v_lshl_add_u64 v[4:5], v[4:5], 0, s[16:17]
	s_or_b64 s[24:25], vcc, s[24:25]
	s_waitcnt vmcnt(0) lgkmcnt(0)
	v_fmac_f64_e32 v[2:3], v[8:9], v[8:9]
	s_andn2_b64 exec, exec, s[24:25]
	s_cbranch_execnz .LBB15_4
; %bb.5:
	s_or_b64 exec, exec, s[24:25]
.LBB15_6:
	s_or_b64 exec, exec, s[6:7]
	v_mbcnt_lo_u32_b32 v4, -1, 0
	v_mbcnt_hi_u32_b32 v6, -1, v4
	v_and_b32_e32 v7, 63, v6
	v_cmp_ne_u32_e32 vcc, 63, v7
	s_nop 1
	v_addc_co_u32_e32 v4, vcc, 0, v6, vcc
	v_lshlrev_b32_e32 v5, 2, v4
	ds_bpermute_b32 v4, v5, v2
	ds_bpermute_b32 v5, v5, v3
	v_cmp_gt_u32_e32 vcc, 62, v7
	s_waitcnt lgkmcnt(0)
	v_add_f64 v[2:3], v[2:3], v[4:5]
	v_cndmask_b32_e64 v4, 0, 2, vcc
	v_add_lshl_u32 v5, v4, v6, 2
	ds_bpermute_b32 v4, v5, v2
	ds_bpermute_b32 v5, v5, v3
	v_cmp_gt_u32_e32 vcc, 60, v7
	s_waitcnt lgkmcnt(0)
	v_add_f64 v[2:3], v[2:3], v[4:5]
	v_cndmask_b32_e64 v4, 0, 4, vcc
	v_add_lshl_u32 v5, v4, v6, 2
	;; [unrolled: 7-line block ×3, first 2 shown]
	ds_bpermute_b32 v4, v5, v2
	ds_bpermute_b32 v5, v5, v3
	v_cmp_gt_u32_e32 vcc, 48, v7
	v_mov_b32_e32 v7, 0x80
	s_waitcnt lgkmcnt(0)
	v_add_f64 v[2:3], v[2:3], v[4:5]
	v_cndmask_b32_e64 v4, 0, 16, vcc
	v_add_lshl_u32 v5, v4, v6, 2
	ds_bpermute_b32 v4, v5, v2
	ds_bpermute_b32 v5, v5, v3
	v_cmp_eq_u32_e32 vcc, 0, v0
	s_waitcnt lgkmcnt(0)
	v_add_f64 v[2:3], v[2:3], v[4:5]
	v_lshl_or_b32 v5, v6, 2, v7
	ds_bpermute_b32 v4, v5, v2
	ds_bpermute_b32 v5, v5, v3
	s_waitcnt lgkmcnt(0)
	v_add_f64 v[2:3], v[2:3], v[4:5]
	s_and_saveexec_b64 s[6:7], vcc
; %bb.7:
	v_lshrrev_b32_e32 v4, 3, v0
	ds_write_b64 v4, v[2:3]
; %bb.8:
	s_or_b64 exec, exec, s[6:7]
	v_cmp_eq_u32_e32 vcc, 0, v0
	s_waitcnt lgkmcnt(0)
	; wave barrier
	s_and_saveexec_b64 s[6:7], vcc
; %bb.9:
	v_mov_b32_e32 v4, 0
	ds_write_b64 v4, v[2:3]
; %bb.10:
	s_or_b64 exec, exec, s[6:7]
	s_waitcnt lgkmcnt(0)
	; wave barrier
	s_and_saveexec_b64 s[6:7], vcc
	s_cbranch_execz .LBB15_17
; %bb.11:
	s_load_dwordx4 s[24:27], s[0:1], 0x58
	s_lshl_b64 s[0:1], s[22:23], 3
	s_add_u32 s0, s8, s0
	s_addc_u32 s1, s9, s1
	v_mov_b32_e32 v2, 0
	s_waitcnt lgkmcnt(0)
	s_mul_i32 s8, s27, s20
	s_mul_hi_u32 s9, s26, s20
	s_add_i32 s9, s9, s8
	s_mul_i32 s8, s26, s20
	ds_read_b64 v[4:5], v2
	s_lshl_b64 s[8:9], s[8:9], 3
	s_add_u32 s8, s24, s8
	s_addc_u32 s9, s25, s9
	s_cmp_eq_u64 s[18:19], 0
	s_cselect_b64 s[20:21], -1, 0
	s_cmp_lg_u64 s[18:19], 0
	s_waitcnt lgkmcnt(0)
	v_cmp_nlt_f64_e32 vcc, 0, v[4:5]
	s_mov_b64 s[22:23], 0
	s_cselect_b64 s[16:17], -1, 0
	s_cbranch_vccz .LBB15_21
; %bb.12:
	v_mov_b32_e32 v3, 0x3ff00000
	ds_write_b64 v2, v[2:3]
	v_mov_b32_e32 v3, v2
	s_mov_b64 s[26:27], 0
	s_and_b64 vcc, exec, s[16:17]
	s_mov_b64 s[24:25], 0
	global_store_dwordx2 v2, v[2:3], s[8:9]
                                        ; implicit-def: $vgpr2_vgpr3
	s_cbranch_vccnz .LBB15_22
; %bb.13:
	s_and_b64 vcc, exec, s[26:27]
	s_cbranch_vccnz .LBB15_23
.LBB15_14:
	s_andn2_b64 vcc, exec, s[24:25]
	s_cbranch_vccz .LBB15_24
.LBB15_15:
	s_andn2_b64 vcc, exec, s[22:23]
	s_cbranch_vccnz .LBB15_17
.LBB15_16:
	v_mov_b64_e32 v[4:5], s[0:1]
	s_waitcnt vmcnt(0) lgkmcnt(0)
	flat_store_dwordx2 v[4:5], v[2:3]
.LBB15_17:
	s_or_b64 exec, exec, s[6:7]
	s_waitcnt lgkmcnt(0)
	; wave barrier
	s_and_saveexec_b64 s[0:1], s[2:3]
	s_cbranch_execz .LBB15_20
; %bb.18:
	v_mad_u64_u32 v[4:5], s[0:1], s14, v0, 0
	s_waitcnt vmcnt(0)
	v_mov_b32_e32 v2, 0
	v_mov_b32_e32 v6, v5
	ds_read_b64 v[2:3], v2
	v_mad_u64_u32 v[6:7], s[0:1], s15, v0, v[6:7]
	s_lshl_b64 s[0:1], s[12:13], 3
	s_add_u32 s0, s10, s0
	v_mov_b32_e32 v5, v6
	s_addc_u32 s1, s11, s1
	v_lshl_add_u64 v[4:5], v[4:5], 3, s[0:1]
	s_lshl_b64 s[0:1], s[14:15], 9
	s_mov_b64 s[2:3], 0
.LBB15_19:                              ; =>This Inner Loop Header: Depth=1
	flat_load_dwordx2 v[6:7], v[4:5]
	v_lshl_add_u64 v[0:1], v[0:1], 0, 64
	v_cmp_le_i64_e32 vcc, s[4:5], v[0:1]
	s_or_b64 s[2:3], vcc, s[2:3]
	s_waitcnt vmcnt(0) lgkmcnt(0)
	v_mul_f64 v[6:7], v[2:3], v[6:7]
	flat_store_dwordx2 v[4:5], v[6:7]
	v_lshl_add_u64 v[4:5], v[4:5], 0, s[0:1]
	s_andn2_b64 exec, exec, s[2:3]
	s_cbranch_execnz .LBB15_19
.LBB15_20:
	s_endpgm
.LBB15_21:
                                        ; implicit-def: $vgpr2_vgpr3
	s_mov_b64 s[24:25], 0
	s_cbranch_execz .LBB15_14
	s_branch .LBB15_23
.LBB15_22:
	v_mov_b64_e32 v[2:3], s[0:1]
	flat_load_dwordx2 v[2:3], v[2:3]
	s_mov_b64 s[24:25], -1
	s_and_b64 vcc, exec, s[26:27]
	s_cbranch_vccz .LBB15_14
.LBB15_23:
	v_mov_b64_e32 v[6:7], s[0:1]
	flat_load_dwordx2 v[8:9], v[6:7]
	s_mov_b32 s22, 0
	s_brev_b32 s23, 8
	s_waitcnt vmcnt(0) lgkmcnt(0)
	v_mov_b32_e32 v2, 0x100
	v_mov_b32_e32 v10, 0xffffff80
	;; [unrolled: 1-line block ×4, first 2 shown]
	s_mov_b64 s[24:25], s[16:17]
	v_fmac_f64_e32 v[4:5], v[8:9], v[8:9]
	v_cmp_gt_f64_e32 vcc, s[22:23], v[4:5]
	s_nop 1
	v_cndmask_b32_e32 v2, 0, v2, vcc
	v_ldexp_f64 v[2:3], v[4:5], v2
	v_rsq_f64_e32 v[4:5], v[2:3]
	v_cndmask_b32_e32 v15, 0, v10, vcc
	v_cmp_class_f64_e32 vcc, v[2:3], v14
	v_mul_f64 v[10:11], v[2:3], v[4:5]
	v_mul_f64 v[4:5], v[4:5], 0.5
	v_fma_f64 v[12:13], -v[4:5], v[10:11], 0.5
	v_fmac_f64_e32 v[10:11], v[10:11], v[12:13]
	v_fmac_f64_e32 v[4:5], v[4:5], v[12:13]
	v_fma_f64 v[12:13], -v[10:11], v[10:11], v[2:3]
	v_fmac_f64_e32 v[10:11], v[12:13], v[4:5]
	v_fma_f64 v[12:13], -v[10:11], v[10:11], v[2:3]
	v_fmac_f64_e32 v[10:11], v[12:13], v[4:5]
	v_ldexp_f64 v[4:5], v[10:11], v15
	v_cndmask_b32_e32 v3, v5, v3, vcc
	v_cndmask_b32_e32 v2, v4, v2, vcc
	v_xor_b32_e32 v4, 0x80000000, v3
	v_cmp_le_f64_e32 vcc, 0, v[8:9]
	s_nop 1
	v_cndmask_b32_e32 v3, v3, v4, vcc
	v_add_f64 v[4:5], v[8:9], -v[2:3]
	v_div_scale_f64 v[8:9], s[22:23], v[4:5], v[4:5], 1.0
	v_rcp_f64_e32 v[10:11], v[8:9]
	v_div_scale_f64 v[12:13], vcc, 1.0, v[4:5], 1.0
	v_fma_f64 v[14:15], -v[8:9], v[10:11], 1.0
	v_fmac_f64_e32 v[10:11], v[10:11], v[14:15]
	v_fma_f64 v[14:15], -v[8:9], v[10:11], 1.0
	v_fmac_f64_e32 v[10:11], v[10:11], v[14:15]
	v_mul_f64 v[14:15], v[12:13], v[10:11]
	v_fma_f64 v[8:9], -v[8:9], v[14:15], v[12:13]
	v_div_fmas_f64 v[8:9], v[8:9], v[10:11], v[14:15]
	v_div_fixup_f64 v[4:5], v[8:9], v[4:5], 1.0
	ds_write_b64 v16, v[4:5]
	flat_load_dwordx2 v[4:5], v[6:7]
	s_waitcnt vmcnt(0) lgkmcnt(0)
	v_add_f64 v[4:5], v[2:3], -v[4:5]
	v_div_scale_f64 v[6:7], s[22:23], v[2:3], v[2:3], v[4:5]
	v_rcp_f64_e32 v[8:9], v[6:7]
	v_div_scale_f64 v[10:11], vcc, v[4:5], v[2:3], v[4:5]
	s_mov_b64 s[22:23], s[20:21]
	v_fma_f64 v[12:13], -v[6:7], v[8:9], 1.0
	v_fmac_f64_e32 v[8:9], v[8:9], v[12:13]
	v_fma_f64 v[12:13], -v[6:7], v[8:9], 1.0
	v_fmac_f64_e32 v[8:9], v[8:9], v[12:13]
	v_mul_f64 v[12:13], v[10:11], v[8:9]
	v_fma_f64 v[6:7], -v[6:7], v[12:13], v[10:11]
	v_div_fmas_f64 v[6:7], v[6:7], v[8:9], v[12:13]
	v_div_fixup_f64 v[4:5], v[6:7], v[2:3], v[4:5]
	global_store_dwordx2 v16, v[4:5], s[8:9]
	s_andn2_b64 vcc, exec, s[24:25]
	s_cbranch_vccnz .LBB15_15
.LBB15_24:
	v_mov_b32_e32 v4, 0
	s_waitcnt vmcnt(0) lgkmcnt(0)
	global_store_dwordx2 v4, v[2:3], s[18:19]
	v_mov_b64_e32 v[2:3], 1.0
	s_branch .LBB15_16
	.section	.rodata,"a",@progbits
	.p2align	6, 0x0
	.amdhsa_kernel _ZN9rocsolver6v33100L18larfg_kernel_smallILi64EdldPKPdEEvT1_T3_llPT2_llS6_lS5_lPT0_l
		.amdhsa_group_segment_fixed_size 8
		.amdhsa_private_segment_fixed_size 0
		.amdhsa_kernarg_size 104
		.amdhsa_user_sgpr_count 2
		.amdhsa_user_sgpr_dispatch_ptr 0
		.amdhsa_user_sgpr_queue_ptr 0
		.amdhsa_user_sgpr_kernarg_segment_ptr 1
		.amdhsa_user_sgpr_dispatch_id 0
		.amdhsa_user_sgpr_kernarg_preload_length 0
		.amdhsa_user_sgpr_kernarg_preload_offset 0
		.amdhsa_user_sgpr_private_segment_size 0
		.amdhsa_uses_dynamic_stack 0
		.amdhsa_enable_private_segment 0
		.amdhsa_system_sgpr_workgroup_id_x 1
		.amdhsa_system_sgpr_workgroup_id_y 0
		.amdhsa_system_sgpr_workgroup_id_z 1
		.amdhsa_system_sgpr_workgroup_info 0
		.amdhsa_system_vgpr_workitem_id 0
		.amdhsa_next_free_vgpr 17
		.amdhsa_next_free_sgpr 28
		.amdhsa_accum_offset 20
		.amdhsa_reserve_vcc 1
		.amdhsa_float_round_mode_32 0
		.amdhsa_float_round_mode_16_64 0
		.amdhsa_float_denorm_mode_32 3
		.amdhsa_float_denorm_mode_16_64 3
		.amdhsa_dx10_clamp 1
		.amdhsa_ieee_mode 1
		.amdhsa_fp16_overflow 0
		.amdhsa_tg_split 0
		.amdhsa_exception_fp_ieee_invalid_op 0
		.amdhsa_exception_fp_denorm_src 0
		.amdhsa_exception_fp_ieee_div_zero 0
		.amdhsa_exception_fp_ieee_overflow 0
		.amdhsa_exception_fp_ieee_underflow 0
		.amdhsa_exception_fp_ieee_inexact 0
		.amdhsa_exception_int_div_zero 0
	.end_amdhsa_kernel
	.section	.text._ZN9rocsolver6v33100L18larfg_kernel_smallILi64EdldPKPdEEvT1_T3_llPT2_llS6_lS5_lPT0_l,"axG",@progbits,_ZN9rocsolver6v33100L18larfg_kernel_smallILi64EdldPKPdEEvT1_T3_llPT2_llS6_lS5_lPT0_l,comdat
.Lfunc_end15:
	.size	_ZN9rocsolver6v33100L18larfg_kernel_smallILi64EdldPKPdEEvT1_T3_llPT2_llS6_lS5_lPT0_l, .Lfunc_end15-_ZN9rocsolver6v33100L18larfg_kernel_smallILi64EdldPKPdEEvT1_T3_llPT2_llS6_lS5_lPT0_l
                                        ; -- End function
	.set _ZN9rocsolver6v33100L18larfg_kernel_smallILi64EdldPKPdEEvT1_T3_llPT2_llS6_lS5_lPT0_l.num_vgpr, 17
	.set _ZN9rocsolver6v33100L18larfg_kernel_smallILi64EdldPKPdEEvT1_T3_llPT2_llS6_lS5_lPT0_l.num_agpr, 0
	.set _ZN9rocsolver6v33100L18larfg_kernel_smallILi64EdldPKPdEEvT1_T3_llPT2_llS6_lS5_lPT0_l.numbered_sgpr, 28
	.set _ZN9rocsolver6v33100L18larfg_kernel_smallILi64EdldPKPdEEvT1_T3_llPT2_llS6_lS5_lPT0_l.num_named_barrier, 0
	.set _ZN9rocsolver6v33100L18larfg_kernel_smallILi64EdldPKPdEEvT1_T3_llPT2_llS6_lS5_lPT0_l.private_seg_size, 0
	.set _ZN9rocsolver6v33100L18larfg_kernel_smallILi64EdldPKPdEEvT1_T3_llPT2_llS6_lS5_lPT0_l.uses_vcc, 1
	.set _ZN9rocsolver6v33100L18larfg_kernel_smallILi64EdldPKPdEEvT1_T3_llPT2_llS6_lS5_lPT0_l.uses_flat_scratch, 0
	.set _ZN9rocsolver6v33100L18larfg_kernel_smallILi64EdldPKPdEEvT1_T3_llPT2_llS6_lS5_lPT0_l.has_dyn_sized_stack, 0
	.set _ZN9rocsolver6v33100L18larfg_kernel_smallILi64EdldPKPdEEvT1_T3_llPT2_llS6_lS5_lPT0_l.has_recursion, 0
	.set _ZN9rocsolver6v33100L18larfg_kernel_smallILi64EdldPKPdEEvT1_T3_llPT2_llS6_lS5_lPT0_l.has_indirect_call, 0
	.section	.AMDGPU.csdata,"",@progbits
; Kernel info:
; codeLenInByte = 1428
; TotalNumSgprs: 34
; NumVgprs: 17
; NumAgprs: 0
; TotalNumVgprs: 17
; ScratchSize: 0
; MemoryBound: 0
; FloatMode: 240
; IeeeMode: 1
; LDSByteSize: 8 bytes/workgroup (compile time only)
; SGPRBlocks: 4
; VGPRBlocks: 2
; NumSGPRsForWavesPerEU: 34
; NumVGPRsForWavesPerEU: 17
; AccumOffset: 20
; Occupancy: 8
; WaveLimiterHint : 1
; COMPUTE_PGM_RSRC2:SCRATCH_EN: 0
; COMPUTE_PGM_RSRC2:USER_SGPR: 2
; COMPUTE_PGM_RSRC2:TRAP_HANDLER: 0
; COMPUTE_PGM_RSRC2:TGID_X_EN: 1
; COMPUTE_PGM_RSRC2:TGID_Y_EN: 0
; COMPUTE_PGM_RSRC2:TGID_Z_EN: 1
; COMPUTE_PGM_RSRC2:TIDIG_COMP_CNT: 0
; COMPUTE_PGM_RSRC3_GFX90A:ACCUM_OFFSET: 4
; COMPUTE_PGM_RSRC3_GFX90A:TG_SPLIT: 0
	.section	.text._ZN9rocsolver6v33100L18larfg_kernel_smallILi128EdldPKPdEEvT1_T3_llPT2_llS6_lS5_lPT0_l,"axG",@progbits,_ZN9rocsolver6v33100L18larfg_kernel_smallILi128EdldPKPdEEvT1_T3_llPT2_llS6_lS5_lPT0_l,comdat
	.globl	_ZN9rocsolver6v33100L18larfg_kernel_smallILi128EdldPKPdEEvT1_T3_llPT2_llS6_lS5_lPT0_l ; -- Begin function _ZN9rocsolver6v33100L18larfg_kernel_smallILi128EdldPKPdEEvT1_T3_llPT2_llS6_lS5_lPT0_l
	.p2align	8
	.type	_ZN9rocsolver6v33100L18larfg_kernel_smallILi128EdldPKPdEEvT1_T3_llPT2_llS6_lS5_lPT0_l,@function
_ZN9rocsolver6v33100L18larfg_kernel_smallILi128EdldPKPdEEvT1_T3_llPT2_llS6_lS5_lPT0_l: ; @_ZN9rocsolver6v33100L18larfg_kernel_smallILi128EdldPKPdEEvT1_T3_llPT2_llS6_lS5_lPT0_l
; %bb.0:
	s_mov_b32 s20, s3
	s_load_dwordx4 s[16:19], s[0:1], 0x0
	s_load_dwordx2 s[22:23], s[0:1], 0x10
	s_load_dwordx8 s[4:11], s[0:1], 0x20
	s_load_dwordx4 s[12:15], s[0:1], 0x40
	s_mov_b32 s21, 0
	s_lshl_b64 s[24:25], s[20:21], 3
	s_waitcnt lgkmcnt(0)
	s_add_u32 s2, s18, s24
	s_addc_u32 s3, s19, s25
	s_add_u32 s10, s10, s24
	s_addc_u32 s11, s11, s25
	s_load_dwordx2 s[10:11], s[10:11], 0x0
	s_cmp_eq_u64 s[4:5], 0
	s_mov_b64 s[18:19], 0
	s_cbranch_scc1 .LBB16_2
; %bb.1:
	s_mul_i32 s9, s9, s20
	s_mul_hi_u32 s18, s8, s20
	s_add_i32 s9, s18, s9
	s_mul_i32 s8, s8, s20
	s_lshl_b64 s[8:9], s[8:9], 3
	s_add_u32 s8, s4, s8
	s_addc_u32 s9, s5, s9
	s_lshl_b64 s[4:5], s[6:7], 3
	s_add_u32 s18, s8, s4
	s_addc_u32 s19, s9, s5
.LBB16_2:
	s_load_dwordx2 s[8:9], s[2:3], 0x0
	s_add_u32 s4, s16, -1
	v_mov_b32_e32 v1, 0
	s_addc_u32 s5, s17, -1
	v_cmp_gt_i64_e64 s[2:3], s[4:5], v[0:1]
	v_mov_b64_e32 v[2:3], 0
	s_and_saveexec_b64 s[6:7], s[2:3]
	s_cbranch_execz .LBB16_6
; %bb.3:
	v_mad_u64_u32 v[2:3], s[16:17], s14, v0, 0
	v_mov_b32_e32 v4, v3
	v_mad_u64_u32 v[4:5], s[16:17], s15, v0, v[4:5]
	s_lshl_b64 s[16:17], s[12:13], 3
	s_waitcnt lgkmcnt(0)
	s_add_u32 s16, s10, s16
	v_mov_b32_e32 v3, v4
	s_addc_u32 s17, s11, s17
	v_lshl_add_u64 v[4:5], v[2:3], 3, s[16:17]
	s_lshl_b64 s[16:17], s[14:15], 10
	v_mov_b64_e32 v[2:3], 0
	s_mov_b64 s[24:25], 0
	s_mov_b64 s[26:27], 0x80
	v_mov_b64_e32 v[6:7], v[0:1]
.LBB16_4:                               ; =>This Inner Loop Header: Depth=1
	flat_load_dwordx2 v[8:9], v[4:5]
	v_lshl_add_u64 v[6:7], v[6:7], 0, s[26:27]
	v_cmp_le_i64_e32 vcc, s[4:5], v[6:7]
	v_lshl_add_u64 v[4:5], v[4:5], 0, s[16:17]
	s_or_b64 s[24:25], vcc, s[24:25]
	s_waitcnt vmcnt(0) lgkmcnt(0)
	v_fmac_f64_e32 v[2:3], v[8:9], v[8:9]
	s_andn2_b64 exec, exec, s[24:25]
	s_cbranch_execnz .LBB16_4
; %bb.5:
	s_or_b64 exec, exec, s[24:25]
.LBB16_6:
	s_or_b64 exec, exec, s[6:7]
	v_mbcnt_lo_u32_b32 v4, -1, 0
	v_mbcnt_hi_u32_b32 v6, -1, v4
	v_and_b32_e32 v7, 63, v6
	v_cmp_ne_u32_e32 vcc, 63, v7
	s_nop 1
	v_addc_co_u32_e32 v4, vcc, 0, v6, vcc
	v_lshlrev_b32_e32 v5, 2, v4
	ds_bpermute_b32 v4, v5, v2
	ds_bpermute_b32 v5, v5, v3
	v_cmp_gt_u32_e32 vcc, 62, v7
	s_waitcnt lgkmcnt(0)
	v_add_f64 v[2:3], v[2:3], v[4:5]
	v_cndmask_b32_e64 v4, 0, 2, vcc
	v_add_lshl_u32 v5, v4, v6, 2
	ds_bpermute_b32 v4, v5, v2
	ds_bpermute_b32 v5, v5, v3
	v_cmp_gt_u32_e32 vcc, 60, v7
	s_waitcnt lgkmcnt(0)
	v_add_f64 v[2:3], v[2:3], v[4:5]
	v_cndmask_b32_e64 v4, 0, 4, vcc
	v_add_lshl_u32 v5, v4, v6, 2
	ds_bpermute_b32 v4, v5, v2
	ds_bpermute_b32 v5, v5, v3
	v_cmp_gt_u32_e32 vcc, 56, v7
	s_waitcnt lgkmcnt(0)
	v_add_f64 v[2:3], v[2:3], v[4:5]
	v_cndmask_b32_e64 v4, 0, 8, vcc
	v_add_lshl_u32 v5, v4, v6, 2
	ds_bpermute_b32 v4, v5, v2
	ds_bpermute_b32 v5, v5, v3
	v_cmp_gt_u32_e32 vcc, 48, v7
	v_mov_b32_e32 v7, 0x80
	s_waitcnt lgkmcnt(0)
	v_add_f64 v[2:3], v[2:3], v[4:5]
	v_cndmask_b32_e64 v4, 0, 16, vcc
	v_add_lshl_u32 v5, v4, v6, 2
	ds_bpermute_b32 v4, v5, v2
	ds_bpermute_b32 v5, v5, v3
	s_waitcnt lgkmcnt(0)
	v_add_f64 v[2:3], v[2:3], v[4:5]
	v_lshl_or_b32 v5, v6, 2, v7
	ds_bpermute_b32 v4, v5, v2
	ds_bpermute_b32 v5, v5, v3
	v_and_b32_e32 v6, 63, v0
	v_cmp_eq_u32_e32 vcc, 0, v6
	s_waitcnt lgkmcnt(0)
	v_add_f64 v[2:3], v[2:3], v[4:5]
	s_and_saveexec_b64 s[6:7], vcc
; %bb.7:
	v_lshrrev_b32_e32 v4, 3, v0
	ds_write_b64 v4, v[2:3]
; %bb.8:
	s_or_b64 exec, exec, s[6:7]
	v_cmp_eq_u32_e32 vcc, 0, v0
	s_waitcnt lgkmcnt(0)
	s_barrier
	s_and_saveexec_b64 s[6:7], vcc
	s_cbranch_execz .LBB16_10
; %bb.9:
	v_mov_b32_e32 v6, 0
	ds_read_b64 v[4:5], v6 offset:8
	s_waitcnt lgkmcnt(0)
	v_add_f64 v[2:3], v[2:3], v[4:5]
	ds_write_b64 v6, v[2:3]
.LBB16_10:
	s_or_b64 exec, exec, s[6:7]
	s_waitcnt lgkmcnt(0)
	s_barrier
	s_and_saveexec_b64 s[6:7], vcc
	s_cbranch_execz .LBB16_17
; %bb.11:
	s_load_dwordx4 s[24:27], s[0:1], 0x58
	s_lshl_b64 s[0:1], s[22:23], 3
	s_add_u32 s0, s8, s0
	s_addc_u32 s1, s9, s1
	v_mov_b32_e32 v2, 0
	s_waitcnt lgkmcnt(0)
	s_mul_i32 s8, s27, s20
	s_mul_hi_u32 s9, s26, s20
	s_add_i32 s9, s9, s8
	s_mul_i32 s8, s26, s20
	ds_read_b64 v[4:5], v2
	s_lshl_b64 s[8:9], s[8:9], 3
	s_add_u32 s8, s24, s8
	s_addc_u32 s9, s25, s9
	s_cmp_eq_u64 s[18:19], 0
	s_cselect_b64 s[20:21], -1, 0
	s_cmp_lg_u64 s[18:19], 0
	s_waitcnt lgkmcnt(0)
	v_cmp_nlt_f64_e32 vcc, 0, v[4:5]
	s_mov_b64 s[22:23], 0
	s_cselect_b64 s[16:17], -1, 0
	s_cbranch_vccz .LBB16_21
; %bb.12:
	v_mov_b32_e32 v3, 0x3ff00000
	ds_write_b64 v2, v[2:3]
	v_mov_b32_e32 v3, v2
	s_mov_b64 s[26:27], 0
	s_and_b64 vcc, exec, s[16:17]
	s_mov_b64 s[24:25], 0
	global_store_dwordx2 v2, v[2:3], s[8:9]
                                        ; implicit-def: $vgpr2_vgpr3
	s_cbranch_vccnz .LBB16_22
; %bb.13:
	s_and_b64 vcc, exec, s[26:27]
	s_cbranch_vccnz .LBB16_23
.LBB16_14:
	s_andn2_b64 vcc, exec, s[24:25]
	s_cbranch_vccz .LBB16_24
.LBB16_15:
	s_andn2_b64 vcc, exec, s[22:23]
	s_cbranch_vccnz .LBB16_17
.LBB16_16:
	v_mov_b64_e32 v[4:5], s[0:1]
	s_waitcnt vmcnt(0) lgkmcnt(0)
	flat_store_dwordx2 v[4:5], v[2:3]
.LBB16_17:
	s_or_b64 exec, exec, s[6:7]
	s_waitcnt lgkmcnt(0)
	s_barrier
	s_and_saveexec_b64 s[0:1], s[2:3]
	s_cbranch_execz .LBB16_20
; %bb.18:
	v_mad_u64_u32 v[4:5], s[0:1], s14, v0, 0
	s_waitcnt vmcnt(0)
	v_mov_b32_e32 v2, 0
	v_mov_b32_e32 v6, v5
	ds_read_b64 v[2:3], v2
	v_mad_u64_u32 v[6:7], s[0:1], s15, v0, v[6:7]
	s_lshl_b64 s[0:1], s[12:13], 3
	s_add_u32 s0, s10, s0
	v_mov_b32_e32 v5, v6
	s_addc_u32 s1, s11, s1
	v_lshl_add_u64 v[4:5], v[4:5], 3, s[0:1]
	s_lshl_b64 s[0:1], s[14:15], 10
	s_mov_b64 s[2:3], 0
	s_mov_b64 s[6:7], 0x80
.LBB16_19:                              ; =>This Inner Loop Header: Depth=1
	flat_load_dwordx2 v[6:7], v[4:5]
	v_lshl_add_u64 v[0:1], v[0:1], 0, s[6:7]
	v_cmp_le_i64_e32 vcc, s[4:5], v[0:1]
	s_or_b64 s[2:3], vcc, s[2:3]
	s_waitcnt vmcnt(0) lgkmcnt(0)
	v_mul_f64 v[6:7], v[2:3], v[6:7]
	flat_store_dwordx2 v[4:5], v[6:7]
	v_lshl_add_u64 v[4:5], v[4:5], 0, s[0:1]
	s_andn2_b64 exec, exec, s[2:3]
	s_cbranch_execnz .LBB16_19
.LBB16_20:
	s_endpgm
.LBB16_21:
                                        ; implicit-def: $vgpr2_vgpr3
	s_mov_b64 s[24:25], 0
	s_cbranch_execz .LBB16_14
	s_branch .LBB16_23
.LBB16_22:
	v_mov_b64_e32 v[2:3], s[0:1]
	flat_load_dwordx2 v[2:3], v[2:3]
	s_mov_b64 s[24:25], -1
	s_and_b64 vcc, exec, s[26:27]
	s_cbranch_vccz .LBB16_14
.LBB16_23:
	v_mov_b64_e32 v[6:7], s[0:1]
	flat_load_dwordx2 v[8:9], v[6:7]
	s_mov_b32 s22, 0
	s_brev_b32 s23, 8
	s_waitcnt vmcnt(0) lgkmcnt(0)
	v_mov_b32_e32 v2, 0x100
	v_mov_b32_e32 v10, 0xffffff80
	;; [unrolled: 1-line block ×4, first 2 shown]
	s_mov_b64 s[24:25], s[16:17]
	v_fmac_f64_e32 v[4:5], v[8:9], v[8:9]
	v_cmp_gt_f64_e32 vcc, s[22:23], v[4:5]
	s_nop 1
	v_cndmask_b32_e32 v2, 0, v2, vcc
	v_ldexp_f64 v[2:3], v[4:5], v2
	v_rsq_f64_e32 v[4:5], v[2:3]
	v_cndmask_b32_e32 v15, 0, v10, vcc
	v_cmp_class_f64_e32 vcc, v[2:3], v14
	v_mul_f64 v[10:11], v[2:3], v[4:5]
	v_mul_f64 v[4:5], v[4:5], 0.5
	v_fma_f64 v[12:13], -v[4:5], v[10:11], 0.5
	v_fmac_f64_e32 v[10:11], v[10:11], v[12:13]
	v_fmac_f64_e32 v[4:5], v[4:5], v[12:13]
	v_fma_f64 v[12:13], -v[10:11], v[10:11], v[2:3]
	v_fmac_f64_e32 v[10:11], v[12:13], v[4:5]
	v_fma_f64 v[12:13], -v[10:11], v[10:11], v[2:3]
	v_fmac_f64_e32 v[10:11], v[12:13], v[4:5]
	v_ldexp_f64 v[4:5], v[10:11], v15
	v_cndmask_b32_e32 v3, v5, v3, vcc
	v_cndmask_b32_e32 v2, v4, v2, vcc
	v_xor_b32_e32 v4, 0x80000000, v3
	v_cmp_le_f64_e32 vcc, 0, v[8:9]
	s_nop 1
	v_cndmask_b32_e32 v3, v3, v4, vcc
	v_add_f64 v[4:5], v[8:9], -v[2:3]
	v_div_scale_f64 v[8:9], s[22:23], v[4:5], v[4:5], 1.0
	v_rcp_f64_e32 v[10:11], v[8:9]
	v_div_scale_f64 v[12:13], vcc, 1.0, v[4:5], 1.0
	v_fma_f64 v[14:15], -v[8:9], v[10:11], 1.0
	v_fmac_f64_e32 v[10:11], v[10:11], v[14:15]
	v_fma_f64 v[14:15], -v[8:9], v[10:11], 1.0
	v_fmac_f64_e32 v[10:11], v[10:11], v[14:15]
	v_mul_f64 v[14:15], v[12:13], v[10:11]
	v_fma_f64 v[8:9], -v[8:9], v[14:15], v[12:13]
	v_div_fmas_f64 v[8:9], v[8:9], v[10:11], v[14:15]
	v_div_fixup_f64 v[4:5], v[8:9], v[4:5], 1.0
	ds_write_b64 v16, v[4:5]
	flat_load_dwordx2 v[4:5], v[6:7]
	s_waitcnt vmcnt(0) lgkmcnt(0)
	v_add_f64 v[4:5], v[2:3], -v[4:5]
	v_div_scale_f64 v[6:7], s[22:23], v[2:3], v[2:3], v[4:5]
	v_rcp_f64_e32 v[8:9], v[6:7]
	v_div_scale_f64 v[10:11], vcc, v[4:5], v[2:3], v[4:5]
	s_mov_b64 s[22:23], s[20:21]
	v_fma_f64 v[12:13], -v[6:7], v[8:9], 1.0
	v_fmac_f64_e32 v[8:9], v[8:9], v[12:13]
	v_fma_f64 v[12:13], -v[6:7], v[8:9], 1.0
	v_fmac_f64_e32 v[8:9], v[8:9], v[12:13]
	v_mul_f64 v[12:13], v[10:11], v[8:9]
	v_fma_f64 v[6:7], -v[6:7], v[12:13], v[10:11]
	v_div_fmas_f64 v[6:7], v[6:7], v[8:9], v[12:13]
	v_div_fixup_f64 v[4:5], v[6:7], v[2:3], v[4:5]
	global_store_dwordx2 v16, v[4:5], s[8:9]
	s_andn2_b64 vcc, exec, s[24:25]
	s_cbranch_vccnz .LBB16_15
.LBB16_24:
	v_mov_b32_e32 v4, 0
	s_waitcnt vmcnt(0) lgkmcnt(0)
	global_store_dwordx2 v4, v[2:3], s[18:19]
	v_mov_b64_e32 v[2:3], 1.0
	s_branch .LBB16_16
	.section	.rodata,"a",@progbits
	.p2align	6, 0x0
	.amdhsa_kernel _ZN9rocsolver6v33100L18larfg_kernel_smallILi128EdldPKPdEEvT1_T3_llPT2_llS6_lS5_lPT0_l
		.amdhsa_group_segment_fixed_size 16
		.amdhsa_private_segment_fixed_size 0
		.amdhsa_kernarg_size 104
		.amdhsa_user_sgpr_count 2
		.amdhsa_user_sgpr_dispatch_ptr 0
		.amdhsa_user_sgpr_queue_ptr 0
		.amdhsa_user_sgpr_kernarg_segment_ptr 1
		.amdhsa_user_sgpr_dispatch_id 0
		.amdhsa_user_sgpr_kernarg_preload_length 0
		.amdhsa_user_sgpr_kernarg_preload_offset 0
		.amdhsa_user_sgpr_private_segment_size 0
		.amdhsa_uses_dynamic_stack 0
		.amdhsa_enable_private_segment 0
		.amdhsa_system_sgpr_workgroup_id_x 1
		.amdhsa_system_sgpr_workgroup_id_y 0
		.amdhsa_system_sgpr_workgroup_id_z 1
		.amdhsa_system_sgpr_workgroup_info 0
		.amdhsa_system_vgpr_workitem_id 0
		.amdhsa_next_free_vgpr 17
		.amdhsa_next_free_sgpr 28
		.amdhsa_accum_offset 20
		.amdhsa_reserve_vcc 1
		.amdhsa_float_round_mode_32 0
		.amdhsa_float_round_mode_16_64 0
		.amdhsa_float_denorm_mode_32 3
		.amdhsa_float_denorm_mode_16_64 3
		.amdhsa_dx10_clamp 1
		.amdhsa_ieee_mode 1
		.amdhsa_fp16_overflow 0
		.amdhsa_tg_split 0
		.amdhsa_exception_fp_ieee_invalid_op 0
		.amdhsa_exception_fp_denorm_src 0
		.amdhsa_exception_fp_ieee_div_zero 0
		.amdhsa_exception_fp_ieee_overflow 0
		.amdhsa_exception_fp_ieee_underflow 0
		.amdhsa_exception_fp_ieee_inexact 0
		.amdhsa_exception_int_div_zero 0
	.end_amdhsa_kernel
	.section	.text._ZN9rocsolver6v33100L18larfg_kernel_smallILi128EdldPKPdEEvT1_T3_llPT2_llS6_lS5_lPT0_l,"axG",@progbits,_ZN9rocsolver6v33100L18larfg_kernel_smallILi128EdldPKPdEEvT1_T3_llPT2_llS6_lS5_lPT0_l,comdat
.Lfunc_end16:
	.size	_ZN9rocsolver6v33100L18larfg_kernel_smallILi128EdldPKPdEEvT1_T3_llPT2_llS6_lS5_lPT0_l, .Lfunc_end16-_ZN9rocsolver6v33100L18larfg_kernel_smallILi128EdldPKPdEEvT1_T3_llPT2_llS6_lS5_lPT0_l
                                        ; -- End function
	.set _ZN9rocsolver6v33100L18larfg_kernel_smallILi128EdldPKPdEEvT1_T3_llPT2_llS6_lS5_lPT0_l.num_vgpr, 17
	.set _ZN9rocsolver6v33100L18larfg_kernel_smallILi128EdldPKPdEEvT1_T3_llPT2_llS6_lS5_lPT0_l.num_agpr, 0
	.set _ZN9rocsolver6v33100L18larfg_kernel_smallILi128EdldPKPdEEvT1_T3_llPT2_llS6_lS5_lPT0_l.numbered_sgpr, 28
	.set _ZN9rocsolver6v33100L18larfg_kernel_smallILi128EdldPKPdEEvT1_T3_llPT2_llS6_lS5_lPT0_l.num_named_barrier, 0
	.set _ZN9rocsolver6v33100L18larfg_kernel_smallILi128EdldPKPdEEvT1_T3_llPT2_llS6_lS5_lPT0_l.private_seg_size, 0
	.set _ZN9rocsolver6v33100L18larfg_kernel_smallILi128EdldPKPdEEvT1_T3_llPT2_llS6_lS5_lPT0_l.uses_vcc, 1
	.set _ZN9rocsolver6v33100L18larfg_kernel_smallILi128EdldPKPdEEvT1_T3_llPT2_llS6_lS5_lPT0_l.uses_flat_scratch, 0
	.set _ZN9rocsolver6v33100L18larfg_kernel_smallILi128EdldPKPdEEvT1_T3_llPT2_llS6_lS5_lPT0_l.has_dyn_sized_stack, 0
	.set _ZN9rocsolver6v33100L18larfg_kernel_smallILi128EdldPKPdEEvT1_T3_llPT2_llS6_lS5_lPT0_l.has_recursion, 0
	.set _ZN9rocsolver6v33100L18larfg_kernel_smallILi128EdldPKPdEEvT1_T3_llPT2_llS6_lS5_lPT0_l.has_indirect_call, 0
	.section	.AMDGPU.csdata,"",@progbits
; Kernel info:
; codeLenInByte = 1484
; TotalNumSgprs: 34
; NumVgprs: 17
; NumAgprs: 0
; TotalNumVgprs: 17
; ScratchSize: 0
; MemoryBound: 0
; FloatMode: 240
; IeeeMode: 1
; LDSByteSize: 16 bytes/workgroup (compile time only)
; SGPRBlocks: 4
; VGPRBlocks: 2
; NumSGPRsForWavesPerEU: 34
; NumVGPRsForWavesPerEU: 17
; AccumOffset: 20
; Occupancy: 8
; WaveLimiterHint : 1
; COMPUTE_PGM_RSRC2:SCRATCH_EN: 0
; COMPUTE_PGM_RSRC2:USER_SGPR: 2
; COMPUTE_PGM_RSRC2:TRAP_HANDLER: 0
; COMPUTE_PGM_RSRC2:TGID_X_EN: 1
; COMPUTE_PGM_RSRC2:TGID_Y_EN: 0
; COMPUTE_PGM_RSRC2:TGID_Z_EN: 1
; COMPUTE_PGM_RSRC2:TIDIG_COMP_CNT: 0
; COMPUTE_PGM_RSRC3_GFX90A:ACCUM_OFFSET: 4
; COMPUTE_PGM_RSRC3_GFX90A:TG_SPLIT: 0
	.section	.text._ZN9rocsolver6v33100L18larfg_kernel_smallILi256EdldPKPdEEvT1_T3_llPT2_llS6_lS5_lPT0_l,"axG",@progbits,_ZN9rocsolver6v33100L18larfg_kernel_smallILi256EdldPKPdEEvT1_T3_llPT2_llS6_lS5_lPT0_l,comdat
	.globl	_ZN9rocsolver6v33100L18larfg_kernel_smallILi256EdldPKPdEEvT1_T3_llPT2_llS6_lS5_lPT0_l ; -- Begin function _ZN9rocsolver6v33100L18larfg_kernel_smallILi256EdldPKPdEEvT1_T3_llPT2_llS6_lS5_lPT0_l
	.p2align	8
	.type	_ZN9rocsolver6v33100L18larfg_kernel_smallILi256EdldPKPdEEvT1_T3_llPT2_llS6_lS5_lPT0_l,@function
_ZN9rocsolver6v33100L18larfg_kernel_smallILi256EdldPKPdEEvT1_T3_llPT2_llS6_lS5_lPT0_l: ; @_ZN9rocsolver6v33100L18larfg_kernel_smallILi256EdldPKPdEEvT1_T3_llPT2_llS6_lS5_lPT0_l
; %bb.0:
	s_mov_b32 s20, s3
	s_load_dwordx4 s[16:19], s[0:1], 0x0
	s_load_dwordx2 s[22:23], s[0:1], 0x10
	s_load_dwordx8 s[4:11], s[0:1], 0x20
	s_load_dwordx4 s[12:15], s[0:1], 0x40
	s_mov_b32 s21, 0
	s_lshl_b64 s[24:25], s[20:21], 3
	s_waitcnt lgkmcnt(0)
	s_add_u32 s2, s18, s24
	s_addc_u32 s3, s19, s25
	s_add_u32 s10, s10, s24
	s_addc_u32 s11, s11, s25
	s_load_dwordx2 s[10:11], s[10:11], 0x0
	s_cmp_eq_u64 s[4:5], 0
	s_mov_b64 s[18:19], 0
	s_cbranch_scc1 .LBB17_2
; %bb.1:
	s_mul_i32 s9, s9, s20
	s_mul_hi_u32 s18, s8, s20
	s_add_i32 s9, s18, s9
	s_mul_i32 s8, s8, s20
	s_lshl_b64 s[8:9], s[8:9], 3
	s_add_u32 s8, s4, s8
	s_addc_u32 s9, s5, s9
	s_lshl_b64 s[4:5], s[6:7], 3
	s_add_u32 s18, s8, s4
	s_addc_u32 s19, s9, s5
.LBB17_2:
	s_load_dwordx2 s[8:9], s[2:3], 0x0
	s_add_u32 s4, s16, -1
	v_mov_b32_e32 v1, 0
	s_addc_u32 s5, s17, -1
	v_cmp_gt_i64_e64 s[2:3], s[4:5], v[0:1]
	v_mov_b64_e32 v[2:3], 0
	s_and_saveexec_b64 s[6:7], s[2:3]
	s_cbranch_execz .LBB17_6
; %bb.3:
	v_mad_u64_u32 v[2:3], s[16:17], s14, v0, 0
	v_mov_b32_e32 v4, v3
	v_mad_u64_u32 v[4:5], s[16:17], s15, v0, v[4:5]
	s_lshl_b64 s[16:17], s[12:13], 3
	s_waitcnt lgkmcnt(0)
	s_add_u32 s16, s10, s16
	v_mov_b32_e32 v3, v4
	s_addc_u32 s17, s11, s17
	v_lshl_add_u64 v[4:5], v[2:3], 3, s[16:17]
	s_lshl_b64 s[16:17], s[14:15], 11
	v_mov_b64_e32 v[2:3], 0
	s_mov_b64 s[24:25], 0
	s_mov_b64 s[26:27], 0x100
	v_mov_b64_e32 v[6:7], v[0:1]
.LBB17_4:                               ; =>This Inner Loop Header: Depth=1
	flat_load_dwordx2 v[8:9], v[4:5]
	v_lshl_add_u64 v[6:7], v[6:7], 0, s[26:27]
	v_cmp_le_i64_e32 vcc, s[4:5], v[6:7]
	v_lshl_add_u64 v[4:5], v[4:5], 0, s[16:17]
	s_or_b64 s[24:25], vcc, s[24:25]
	s_waitcnt vmcnt(0) lgkmcnt(0)
	v_fmac_f64_e32 v[2:3], v[8:9], v[8:9]
	s_andn2_b64 exec, exec, s[24:25]
	s_cbranch_execnz .LBB17_4
; %bb.5:
	s_or_b64 exec, exec, s[24:25]
.LBB17_6:
	s_or_b64 exec, exec, s[6:7]
	v_mbcnt_lo_u32_b32 v4, -1, 0
	v_mbcnt_hi_u32_b32 v6, -1, v4
	v_and_b32_e32 v7, 63, v6
	v_cmp_ne_u32_e32 vcc, 63, v7
	s_nop 1
	v_addc_co_u32_e32 v4, vcc, 0, v6, vcc
	v_lshlrev_b32_e32 v5, 2, v4
	ds_bpermute_b32 v4, v5, v2
	ds_bpermute_b32 v5, v5, v3
	v_cmp_gt_u32_e32 vcc, 62, v7
	s_waitcnt lgkmcnt(0)
	v_add_f64 v[2:3], v[2:3], v[4:5]
	v_cndmask_b32_e64 v4, 0, 2, vcc
	v_add_lshl_u32 v5, v4, v6, 2
	ds_bpermute_b32 v4, v5, v2
	ds_bpermute_b32 v5, v5, v3
	v_cmp_gt_u32_e32 vcc, 60, v7
	s_waitcnt lgkmcnt(0)
	v_add_f64 v[2:3], v[2:3], v[4:5]
	v_cndmask_b32_e64 v4, 0, 4, vcc
	v_add_lshl_u32 v5, v4, v6, 2
	;; [unrolled: 7-line block ×3, first 2 shown]
	ds_bpermute_b32 v4, v5, v2
	ds_bpermute_b32 v5, v5, v3
	v_cmp_gt_u32_e32 vcc, 48, v7
	v_mov_b32_e32 v7, 0x80
	s_waitcnt lgkmcnt(0)
	v_add_f64 v[2:3], v[2:3], v[4:5]
	v_cndmask_b32_e64 v4, 0, 16, vcc
	v_add_lshl_u32 v5, v4, v6, 2
	ds_bpermute_b32 v4, v5, v2
	ds_bpermute_b32 v5, v5, v3
	s_waitcnt lgkmcnt(0)
	v_add_f64 v[2:3], v[2:3], v[4:5]
	v_lshl_or_b32 v5, v6, 2, v7
	ds_bpermute_b32 v4, v5, v2
	ds_bpermute_b32 v5, v5, v3
	v_and_b32_e32 v6, 63, v0
	v_cmp_eq_u32_e32 vcc, 0, v6
	s_waitcnt lgkmcnt(0)
	v_add_f64 v[2:3], v[2:3], v[4:5]
	s_and_saveexec_b64 s[6:7], vcc
; %bb.7:
	v_lshrrev_b32_e32 v4, 3, v0
	ds_write_b64 v4, v[2:3]
; %bb.8:
	s_or_b64 exec, exec, s[6:7]
	v_cmp_eq_u32_e32 vcc, 0, v0
	s_waitcnt lgkmcnt(0)
	s_barrier
	s_and_saveexec_b64 s[6:7], vcc
	s_cbranch_execz .LBB17_10
; %bb.9:
	v_mov_b32_e32 v10, 0
	ds_read2_b64 v[4:7], v10 offset0:1 offset1:2
	ds_read_b64 v[8:9], v10 offset:24
	s_waitcnt lgkmcnt(1)
	v_add_f64 v[2:3], v[2:3], v[4:5]
	v_add_f64 v[2:3], v[2:3], v[6:7]
	s_waitcnt lgkmcnt(0)
	v_add_f64 v[2:3], v[2:3], v[8:9]
	ds_write_b64 v10, v[2:3]
.LBB17_10:
	s_or_b64 exec, exec, s[6:7]
	s_waitcnt lgkmcnt(0)
	s_barrier
	s_and_saveexec_b64 s[6:7], vcc
	s_cbranch_execz .LBB17_17
; %bb.11:
	s_load_dwordx4 s[24:27], s[0:1], 0x58
	s_lshl_b64 s[0:1], s[22:23], 3
	s_add_u32 s0, s8, s0
	s_addc_u32 s1, s9, s1
	v_mov_b32_e32 v2, 0
	s_waitcnt lgkmcnt(0)
	s_mul_i32 s8, s27, s20
	s_mul_hi_u32 s9, s26, s20
	s_add_i32 s9, s9, s8
	s_mul_i32 s8, s26, s20
	ds_read_b64 v[4:5], v2
	s_lshl_b64 s[8:9], s[8:9], 3
	s_add_u32 s8, s24, s8
	s_addc_u32 s9, s25, s9
	s_cmp_eq_u64 s[18:19], 0
	s_cselect_b64 s[20:21], -1, 0
	s_cmp_lg_u64 s[18:19], 0
	s_waitcnt lgkmcnt(0)
	v_cmp_nlt_f64_e32 vcc, 0, v[4:5]
	s_mov_b64 s[22:23], 0
	s_cselect_b64 s[16:17], -1, 0
	s_cbranch_vccz .LBB17_21
; %bb.12:
	v_mov_b32_e32 v3, 0x3ff00000
	ds_write_b64 v2, v[2:3]
	v_mov_b32_e32 v3, v2
	s_mov_b64 s[26:27], 0
	s_and_b64 vcc, exec, s[16:17]
	s_mov_b64 s[24:25], 0
	global_store_dwordx2 v2, v[2:3], s[8:9]
                                        ; implicit-def: $vgpr2_vgpr3
	s_cbranch_vccnz .LBB17_22
; %bb.13:
	s_and_b64 vcc, exec, s[26:27]
	s_cbranch_vccnz .LBB17_23
.LBB17_14:
	s_andn2_b64 vcc, exec, s[24:25]
	s_cbranch_vccz .LBB17_24
.LBB17_15:
	s_andn2_b64 vcc, exec, s[22:23]
	s_cbranch_vccnz .LBB17_17
.LBB17_16:
	v_mov_b64_e32 v[4:5], s[0:1]
	s_waitcnt vmcnt(0) lgkmcnt(0)
	flat_store_dwordx2 v[4:5], v[2:3]
.LBB17_17:
	s_or_b64 exec, exec, s[6:7]
	s_waitcnt lgkmcnt(0)
	s_barrier
	s_and_saveexec_b64 s[0:1], s[2:3]
	s_cbranch_execz .LBB17_20
; %bb.18:
	v_mad_u64_u32 v[4:5], s[0:1], s14, v0, 0
	s_waitcnt vmcnt(0)
	v_mov_b32_e32 v2, 0
	v_mov_b32_e32 v6, v5
	ds_read_b64 v[2:3], v2
	v_mad_u64_u32 v[6:7], s[0:1], s15, v0, v[6:7]
	s_lshl_b64 s[0:1], s[12:13], 3
	s_add_u32 s0, s10, s0
	v_mov_b32_e32 v5, v6
	s_addc_u32 s1, s11, s1
	v_lshl_add_u64 v[4:5], v[4:5], 3, s[0:1]
	s_lshl_b64 s[0:1], s[14:15], 11
	s_mov_b64 s[2:3], 0
	s_mov_b64 s[6:7], 0x100
.LBB17_19:                              ; =>This Inner Loop Header: Depth=1
	flat_load_dwordx2 v[6:7], v[4:5]
	v_lshl_add_u64 v[0:1], v[0:1], 0, s[6:7]
	v_cmp_le_i64_e32 vcc, s[4:5], v[0:1]
	s_or_b64 s[2:3], vcc, s[2:3]
	s_waitcnt vmcnt(0) lgkmcnt(0)
	v_mul_f64 v[6:7], v[2:3], v[6:7]
	flat_store_dwordx2 v[4:5], v[6:7]
	v_lshl_add_u64 v[4:5], v[4:5], 0, s[0:1]
	s_andn2_b64 exec, exec, s[2:3]
	s_cbranch_execnz .LBB17_19
.LBB17_20:
	s_endpgm
.LBB17_21:
                                        ; implicit-def: $vgpr2_vgpr3
	s_mov_b64 s[24:25], 0
	s_cbranch_execz .LBB17_14
	s_branch .LBB17_23
.LBB17_22:
	v_mov_b64_e32 v[2:3], s[0:1]
	flat_load_dwordx2 v[2:3], v[2:3]
	s_mov_b64 s[24:25], -1
	s_and_b64 vcc, exec, s[26:27]
	s_cbranch_vccz .LBB17_14
.LBB17_23:
	v_mov_b64_e32 v[6:7], s[0:1]
	flat_load_dwordx2 v[8:9], v[6:7]
	s_mov_b32 s22, 0
	s_brev_b32 s23, 8
	s_waitcnt vmcnt(0) lgkmcnt(0)
	v_mov_b32_e32 v2, 0x100
	v_mov_b32_e32 v10, 0xffffff80
	;; [unrolled: 1-line block ×4, first 2 shown]
	s_mov_b64 s[24:25], s[16:17]
	v_fmac_f64_e32 v[4:5], v[8:9], v[8:9]
	v_cmp_gt_f64_e32 vcc, s[22:23], v[4:5]
	s_nop 1
	v_cndmask_b32_e32 v2, 0, v2, vcc
	v_ldexp_f64 v[2:3], v[4:5], v2
	v_rsq_f64_e32 v[4:5], v[2:3]
	v_cndmask_b32_e32 v15, 0, v10, vcc
	v_cmp_class_f64_e32 vcc, v[2:3], v14
	v_mul_f64 v[10:11], v[2:3], v[4:5]
	v_mul_f64 v[4:5], v[4:5], 0.5
	v_fma_f64 v[12:13], -v[4:5], v[10:11], 0.5
	v_fmac_f64_e32 v[10:11], v[10:11], v[12:13]
	v_fmac_f64_e32 v[4:5], v[4:5], v[12:13]
	v_fma_f64 v[12:13], -v[10:11], v[10:11], v[2:3]
	v_fmac_f64_e32 v[10:11], v[12:13], v[4:5]
	v_fma_f64 v[12:13], -v[10:11], v[10:11], v[2:3]
	v_fmac_f64_e32 v[10:11], v[12:13], v[4:5]
	v_ldexp_f64 v[4:5], v[10:11], v15
	v_cndmask_b32_e32 v3, v5, v3, vcc
	v_cndmask_b32_e32 v2, v4, v2, vcc
	v_xor_b32_e32 v4, 0x80000000, v3
	v_cmp_le_f64_e32 vcc, 0, v[8:9]
	s_nop 1
	v_cndmask_b32_e32 v3, v3, v4, vcc
	v_add_f64 v[4:5], v[8:9], -v[2:3]
	v_div_scale_f64 v[8:9], s[22:23], v[4:5], v[4:5], 1.0
	v_rcp_f64_e32 v[10:11], v[8:9]
	v_div_scale_f64 v[12:13], vcc, 1.0, v[4:5], 1.0
	v_fma_f64 v[14:15], -v[8:9], v[10:11], 1.0
	v_fmac_f64_e32 v[10:11], v[10:11], v[14:15]
	v_fma_f64 v[14:15], -v[8:9], v[10:11], 1.0
	v_fmac_f64_e32 v[10:11], v[10:11], v[14:15]
	v_mul_f64 v[14:15], v[12:13], v[10:11]
	v_fma_f64 v[8:9], -v[8:9], v[14:15], v[12:13]
	v_div_fmas_f64 v[8:9], v[8:9], v[10:11], v[14:15]
	v_div_fixup_f64 v[4:5], v[8:9], v[4:5], 1.0
	ds_write_b64 v16, v[4:5]
	flat_load_dwordx2 v[4:5], v[6:7]
	s_waitcnt vmcnt(0) lgkmcnt(0)
	v_add_f64 v[4:5], v[2:3], -v[4:5]
	v_div_scale_f64 v[6:7], s[22:23], v[2:3], v[2:3], v[4:5]
	v_rcp_f64_e32 v[8:9], v[6:7]
	v_div_scale_f64 v[10:11], vcc, v[4:5], v[2:3], v[4:5]
	s_mov_b64 s[22:23], s[20:21]
	v_fma_f64 v[12:13], -v[6:7], v[8:9], 1.0
	v_fmac_f64_e32 v[8:9], v[8:9], v[12:13]
	v_fma_f64 v[12:13], -v[6:7], v[8:9], 1.0
	v_fmac_f64_e32 v[8:9], v[8:9], v[12:13]
	v_mul_f64 v[12:13], v[10:11], v[8:9]
	v_fma_f64 v[6:7], -v[6:7], v[12:13], v[10:11]
	v_div_fmas_f64 v[6:7], v[6:7], v[8:9], v[12:13]
	v_div_fixup_f64 v[4:5], v[6:7], v[2:3], v[4:5]
	global_store_dwordx2 v16, v[4:5], s[8:9]
	s_andn2_b64 vcc, exec, s[24:25]
	s_cbranch_vccnz .LBB17_15
.LBB17_24:
	v_mov_b32_e32 v4, 0
	s_waitcnt vmcnt(0) lgkmcnt(0)
	global_store_dwordx2 v4, v[2:3], s[18:19]
	v_mov_b64_e32 v[2:3], 1.0
	s_branch .LBB17_16
	.section	.rodata,"a",@progbits
	.p2align	6, 0x0
	.amdhsa_kernel _ZN9rocsolver6v33100L18larfg_kernel_smallILi256EdldPKPdEEvT1_T3_llPT2_llS6_lS5_lPT0_l
		.amdhsa_group_segment_fixed_size 32
		.amdhsa_private_segment_fixed_size 0
		.amdhsa_kernarg_size 104
		.amdhsa_user_sgpr_count 2
		.amdhsa_user_sgpr_dispatch_ptr 0
		.amdhsa_user_sgpr_queue_ptr 0
		.amdhsa_user_sgpr_kernarg_segment_ptr 1
		.amdhsa_user_sgpr_dispatch_id 0
		.amdhsa_user_sgpr_kernarg_preload_length 0
		.amdhsa_user_sgpr_kernarg_preload_offset 0
		.amdhsa_user_sgpr_private_segment_size 0
		.amdhsa_uses_dynamic_stack 0
		.amdhsa_enable_private_segment 0
		.amdhsa_system_sgpr_workgroup_id_x 1
		.amdhsa_system_sgpr_workgroup_id_y 0
		.amdhsa_system_sgpr_workgroup_id_z 1
		.amdhsa_system_sgpr_workgroup_info 0
		.amdhsa_system_vgpr_workitem_id 0
		.amdhsa_next_free_vgpr 17
		.amdhsa_next_free_sgpr 28
		.amdhsa_accum_offset 20
		.amdhsa_reserve_vcc 1
		.amdhsa_float_round_mode_32 0
		.amdhsa_float_round_mode_16_64 0
		.amdhsa_float_denorm_mode_32 3
		.amdhsa_float_denorm_mode_16_64 3
		.amdhsa_dx10_clamp 1
		.amdhsa_ieee_mode 1
		.amdhsa_fp16_overflow 0
		.amdhsa_tg_split 0
		.amdhsa_exception_fp_ieee_invalid_op 0
		.amdhsa_exception_fp_denorm_src 0
		.amdhsa_exception_fp_ieee_div_zero 0
		.amdhsa_exception_fp_ieee_overflow 0
		.amdhsa_exception_fp_ieee_underflow 0
		.amdhsa_exception_fp_ieee_inexact 0
		.amdhsa_exception_int_div_zero 0
	.end_amdhsa_kernel
	.section	.text._ZN9rocsolver6v33100L18larfg_kernel_smallILi256EdldPKPdEEvT1_T3_llPT2_llS6_lS5_lPT0_l,"axG",@progbits,_ZN9rocsolver6v33100L18larfg_kernel_smallILi256EdldPKPdEEvT1_T3_llPT2_llS6_lS5_lPT0_l,comdat
.Lfunc_end17:
	.size	_ZN9rocsolver6v33100L18larfg_kernel_smallILi256EdldPKPdEEvT1_T3_llPT2_llS6_lS5_lPT0_l, .Lfunc_end17-_ZN9rocsolver6v33100L18larfg_kernel_smallILi256EdldPKPdEEvT1_T3_llPT2_llS6_lS5_lPT0_l
                                        ; -- End function
	.set _ZN9rocsolver6v33100L18larfg_kernel_smallILi256EdldPKPdEEvT1_T3_llPT2_llS6_lS5_lPT0_l.num_vgpr, 17
	.set _ZN9rocsolver6v33100L18larfg_kernel_smallILi256EdldPKPdEEvT1_T3_llPT2_llS6_lS5_lPT0_l.num_agpr, 0
	.set _ZN9rocsolver6v33100L18larfg_kernel_smallILi256EdldPKPdEEvT1_T3_llPT2_llS6_lS5_lPT0_l.numbered_sgpr, 28
	.set _ZN9rocsolver6v33100L18larfg_kernel_smallILi256EdldPKPdEEvT1_T3_llPT2_llS6_lS5_lPT0_l.num_named_barrier, 0
	.set _ZN9rocsolver6v33100L18larfg_kernel_smallILi256EdldPKPdEEvT1_T3_llPT2_llS6_lS5_lPT0_l.private_seg_size, 0
	.set _ZN9rocsolver6v33100L18larfg_kernel_smallILi256EdldPKPdEEvT1_T3_llPT2_llS6_lS5_lPT0_l.uses_vcc, 1
	.set _ZN9rocsolver6v33100L18larfg_kernel_smallILi256EdldPKPdEEvT1_T3_llPT2_llS6_lS5_lPT0_l.uses_flat_scratch, 0
	.set _ZN9rocsolver6v33100L18larfg_kernel_smallILi256EdldPKPdEEvT1_T3_llPT2_llS6_lS5_lPT0_l.has_dyn_sized_stack, 0
	.set _ZN9rocsolver6v33100L18larfg_kernel_smallILi256EdldPKPdEEvT1_T3_llPT2_llS6_lS5_lPT0_l.has_recursion, 0
	.set _ZN9rocsolver6v33100L18larfg_kernel_smallILi256EdldPKPdEEvT1_T3_llPT2_llS6_lS5_lPT0_l.has_indirect_call, 0
	.section	.AMDGPU.csdata,"",@progbits
; Kernel info:
; codeLenInByte = 1512
; TotalNumSgprs: 34
; NumVgprs: 17
; NumAgprs: 0
; TotalNumVgprs: 17
; ScratchSize: 0
; MemoryBound: 0
; FloatMode: 240
; IeeeMode: 1
; LDSByteSize: 32 bytes/workgroup (compile time only)
; SGPRBlocks: 4
; VGPRBlocks: 2
; NumSGPRsForWavesPerEU: 34
; NumVGPRsForWavesPerEU: 17
; AccumOffset: 20
; Occupancy: 8
; WaveLimiterHint : 1
; COMPUTE_PGM_RSRC2:SCRATCH_EN: 0
; COMPUTE_PGM_RSRC2:USER_SGPR: 2
; COMPUTE_PGM_RSRC2:TRAP_HANDLER: 0
; COMPUTE_PGM_RSRC2:TGID_X_EN: 1
; COMPUTE_PGM_RSRC2:TGID_Y_EN: 0
; COMPUTE_PGM_RSRC2:TGID_Z_EN: 1
; COMPUTE_PGM_RSRC2:TIDIG_COMP_CNT: 0
; COMPUTE_PGM_RSRC3_GFX90A:ACCUM_OFFSET: 4
; COMPUTE_PGM_RSRC3_GFX90A:TG_SPLIT: 0
	.section	.text._ZN9rocsolver6v33100L18larfg_kernel_smallILi512EdldPKPdEEvT1_T3_llPT2_llS6_lS5_lPT0_l,"axG",@progbits,_ZN9rocsolver6v33100L18larfg_kernel_smallILi512EdldPKPdEEvT1_T3_llPT2_llS6_lS5_lPT0_l,comdat
	.globl	_ZN9rocsolver6v33100L18larfg_kernel_smallILi512EdldPKPdEEvT1_T3_llPT2_llS6_lS5_lPT0_l ; -- Begin function _ZN9rocsolver6v33100L18larfg_kernel_smallILi512EdldPKPdEEvT1_T3_llPT2_llS6_lS5_lPT0_l
	.p2align	8
	.type	_ZN9rocsolver6v33100L18larfg_kernel_smallILi512EdldPKPdEEvT1_T3_llPT2_llS6_lS5_lPT0_l,@function
_ZN9rocsolver6v33100L18larfg_kernel_smallILi512EdldPKPdEEvT1_T3_llPT2_llS6_lS5_lPT0_l: ; @_ZN9rocsolver6v33100L18larfg_kernel_smallILi512EdldPKPdEEvT1_T3_llPT2_llS6_lS5_lPT0_l
; %bb.0:
	s_mov_b32 s20, s3
	s_load_dwordx4 s[16:19], s[0:1], 0x0
	s_load_dwordx2 s[22:23], s[0:1], 0x10
	s_load_dwordx8 s[4:11], s[0:1], 0x20
	s_load_dwordx4 s[12:15], s[0:1], 0x40
	s_mov_b32 s21, 0
	s_lshl_b64 s[24:25], s[20:21], 3
	s_waitcnt lgkmcnt(0)
	s_add_u32 s2, s18, s24
	s_addc_u32 s3, s19, s25
	s_add_u32 s10, s10, s24
	s_addc_u32 s11, s11, s25
	s_load_dwordx2 s[10:11], s[10:11], 0x0
	s_cmp_eq_u64 s[4:5], 0
	s_mov_b64 s[18:19], 0
	s_cbranch_scc1 .LBB18_2
; %bb.1:
	s_mul_i32 s9, s9, s20
	s_mul_hi_u32 s18, s8, s20
	s_add_i32 s9, s18, s9
	s_mul_i32 s8, s8, s20
	s_lshl_b64 s[8:9], s[8:9], 3
	s_add_u32 s8, s4, s8
	s_addc_u32 s9, s5, s9
	s_lshl_b64 s[4:5], s[6:7], 3
	s_add_u32 s18, s8, s4
	s_addc_u32 s19, s9, s5
.LBB18_2:
	s_load_dwordx2 s[8:9], s[2:3], 0x0
	s_add_u32 s4, s16, -1
	v_mov_b32_e32 v1, 0
	s_addc_u32 s5, s17, -1
	v_cmp_gt_i64_e64 s[2:3], s[4:5], v[0:1]
	v_mov_b64_e32 v[2:3], 0
	s_and_saveexec_b64 s[6:7], s[2:3]
	s_cbranch_execz .LBB18_6
; %bb.3:
	v_mad_u64_u32 v[2:3], s[16:17], s14, v0, 0
	v_mov_b32_e32 v4, v3
	v_mad_u64_u32 v[4:5], s[16:17], s15, v0, v[4:5]
	s_lshl_b64 s[16:17], s[12:13], 3
	s_waitcnt lgkmcnt(0)
	s_add_u32 s16, s10, s16
	v_mov_b32_e32 v3, v4
	s_addc_u32 s17, s11, s17
	v_lshl_add_u64 v[4:5], v[2:3], 3, s[16:17]
	s_lshl_b64 s[16:17], s[14:15], 12
	v_mov_b64_e32 v[2:3], 0
	s_mov_b64 s[24:25], 0
	s_mov_b64 s[26:27], 0x200
	v_mov_b64_e32 v[6:7], v[0:1]
.LBB18_4:                               ; =>This Inner Loop Header: Depth=1
	flat_load_dwordx2 v[8:9], v[4:5]
	v_lshl_add_u64 v[6:7], v[6:7], 0, s[26:27]
	v_cmp_le_i64_e32 vcc, s[4:5], v[6:7]
	v_lshl_add_u64 v[4:5], v[4:5], 0, s[16:17]
	s_or_b64 s[24:25], vcc, s[24:25]
	s_waitcnt vmcnt(0) lgkmcnt(0)
	v_fmac_f64_e32 v[2:3], v[8:9], v[8:9]
	s_andn2_b64 exec, exec, s[24:25]
	s_cbranch_execnz .LBB18_4
; %bb.5:
	s_or_b64 exec, exec, s[24:25]
.LBB18_6:
	s_or_b64 exec, exec, s[6:7]
	v_mbcnt_lo_u32_b32 v4, -1, 0
	v_mbcnt_hi_u32_b32 v6, -1, v4
	v_and_b32_e32 v7, 63, v6
	v_cmp_ne_u32_e32 vcc, 63, v7
	s_nop 1
	v_addc_co_u32_e32 v4, vcc, 0, v6, vcc
	v_lshlrev_b32_e32 v5, 2, v4
	ds_bpermute_b32 v4, v5, v2
	ds_bpermute_b32 v5, v5, v3
	v_cmp_gt_u32_e32 vcc, 62, v7
	s_waitcnt lgkmcnt(0)
	v_add_f64 v[2:3], v[2:3], v[4:5]
	v_cndmask_b32_e64 v4, 0, 2, vcc
	v_add_lshl_u32 v5, v4, v6, 2
	ds_bpermute_b32 v4, v5, v2
	ds_bpermute_b32 v5, v5, v3
	v_cmp_gt_u32_e32 vcc, 60, v7
	s_waitcnt lgkmcnt(0)
	v_add_f64 v[2:3], v[2:3], v[4:5]
	v_cndmask_b32_e64 v4, 0, 4, vcc
	v_add_lshl_u32 v5, v4, v6, 2
	;; [unrolled: 7-line block ×3, first 2 shown]
	ds_bpermute_b32 v4, v5, v2
	ds_bpermute_b32 v5, v5, v3
	v_cmp_gt_u32_e32 vcc, 48, v7
	v_mov_b32_e32 v7, 0x80
	s_waitcnt lgkmcnt(0)
	v_add_f64 v[2:3], v[2:3], v[4:5]
	v_cndmask_b32_e64 v4, 0, 16, vcc
	v_add_lshl_u32 v5, v4, v6, 2
	ds_bpermute_b32 v4, v5, v2
	ds_bpermute_b32 v5, v5, v3
	s_waitcnt lgkmcnt(0)
	v_add_f64 v[2:3], v[2:3], v[4:5]
	v_lshl_or_b32 v5, v6, 2, v7
	ds_bpermute_b32 v4, v5, v2
	ds_bpermute_b32 v5, v5, v3
	v_and_b32_e32 v6, 63, v0
	v_cmp_eq_u32_e32 vcc, 0, v6
	s_waitcnt lgkmcnt(0)
	v_add_f64 v[2:3], v[2:3], v[4:5]
	s_and_saveexec_b64 s[6:7], vcc
; %bb.7:
	v_lshrrev_b32_e32 v4, 3, v0
	ds_write_b64 v4, v[2:3]
; %bb.8:
	s_or_b64 exec, exec, s[6:7]
	v_cmp_eq_u32_e32 vcc, 0, v0
	s_waitcnt lgkmcnt(0)
	s_barrier
	s_and_saveexec_b64 s[6:7], vcc
	s_cbranch_execz .LBB18_10
; %bb.9:
	v_mov_b32_e32 v16, 0
	ds_read2_b64 v[4:7], v16 offset0:1 offset1:2
	ds_read2_b64 v[8:11], v16 offset0:3 offset1:4
	;; [unrolled: 1-line block ×3, first 2 shown]
	s_waitcnt lgkmcnt(2)
	v_add_f64 v[2:3], v[2:3], v[4:5]
	v_add_f64 v[2:3], v[2:3], v[6:7]
	ds_read_b64 v[4:5], v16 offset:56
	s_waitcnt lgkmcnt(2)
	v_add_f64 v[2:3], v[2:3], v[8:9]
	v_add_f64 v[2:3], v[2:3], v[10:11]
	s_waitcnt lgkmcnt(1)
	v_add_f64 v[2:3], v[2:3], v[12:13]
	v_add_f64 v[2:3], v[2:3], v[14:15]
	s_waitcnt lgkmcnt(0)
	v_add_f64 v[2:3], v[2:3], v[4:5]
	ds_write_b64 v16, v[2:3]
.LBB18_10:
	s_or_b64 exec, exec, s[6:7]
	s_waitcnt lgkmcnt(0)
	s_barrier
	s_and_saveexec_b64 s[6:7], vcc
	s_cbranch_execz .LBB18_17
; %bb.11:
	s_load_dwordx4 s[24:27], s[0:1], 0x58
	s_lshl_b64 s[0:1], s[22:23], 3
	s_add_u32 s0, s8, s0
	s_addc_u32 s1, s9, s1
	v_mov_b32_e32 v2, 0
	s_waitcnt lgkmcnt(0)
	s_mul_i32 s8, s27, s20
	s_mul_hi_u32 s9, s26, s20
	s_add_i32 s9, s9, s8
	s_mul_i32 s8, s26, s20
	ds_read_b64 v[4:5], v2
	s_lshl_b64 s[8:9], s[8:9], 3
	s_add_u32 s8, s24, s8
	s_addc_u32 s9, s25, s9
	s_cmp_eq_u64 s[18:19], 0
	s_cselect_b64 s[20:21], -1, 0
	s_cmp_lg_u64 s[18:19], 0
	s_waitcnt lgkmcnt(0)
	v_cmp_nlt_f64_e32 vcc, 0, v[4:5]
	s_mov_b64 s[22:23], 0
	s_cselect_b64 s[16:17], -1, 0
	s_cbranch_vccz .LBB18_21
; %bb.12:
	v_mov_b32_e32 v3, 0x3ff00000
	ds_write_b64 v2, v[2:3]
	v_mov_b32_e32 v3, v2
	s_mov_b64 s[26:27], 0
	s_and_b64 vcc, exec, s[16:17]
	s_mov_b64 s[24:25], 0
	global_store_dwordx2 v2, v[2:3], s[8:9]
                                        ; implicit-def: $vgpr2_vgpr3
	s_cbranch_vccnz .LBB18_22
; %bb.13:
	s_and_b64 vcc, exec, s[26:27]
	s_cbranch_vccnz .LBB18_23
.LBB18_14:
	s_andn2_b64 vcc, exec, s[24:25]
	s_cbranch_vccz .LBB18_24
.LBB18_15:
	s_andn2_b64 vcc, exec, s[22:23]
	s_cbranch_vccnz .LBB18_17
.LBB18_16:
	v_mov_b64_e32 v[4:5], s[0:1]
	s_waitcnt vmcnt(0) lgkmcnt(0)
	flat_store_dwordx2 v[4:5], v[2:3]
.LBB18_17:
	s_or_b64 exec, exec, s[6:7]
	s_waitcnt lgkmcnt(0)
	s_barrier
	s_and_saveexec_b64 s[0:1], s[2:3]
	s_cbranch_execz .LBB18_20
; %bb.18:
	v_mad_u64_u32 v[4:5], s[0:1], s14, v0, 0
	s_waitcnt vmcnt(0)
	v_mov_b32_e32 v2, 0
	v_mov_b32_e32 v6, v5
	ds_read_b64 v[2:3], v2
	v_mad_u64_u32 v[6:7], s[0:1], s15, v0, v[6:7]
	s_lshl_b64 s[0:1], s[12:13], 3
	s_add_u32 s0, s10, s0
	v_mov_b32_e32 v5, v6
	s_addc_u32 s1, s11, s1
	v_lshl_add_u64 v[4:5], v[4:5], 3, s[0:1]
	s_lshl_b64 s[0:1], s[14:15], 12
	s_mov_b64 s[2:3], 0
	s_mov_b64 s[6:7], 0x200
.LBB18_19:                              ; =>This Inner Loop Header: Depth=1
	flat_load_dwordx2 v[6:7], v[4:5]
	v_lshl_add_u64 v[0:1], v[0:1], 0, s[6:7]
	v_cmp_le_i64_e32 vcc, s[4:5], v[0:1]
	s_or_b64 s[2:3], vcc, s[2:3]
	s_waitcnt vmcnt(0) lgkmcnt(0)
	v_mul_f64 v[6:7], v[2:3], v[6:7]
	flat_store_dwordx2 v[4:5], v[6:7]
	v_lshl_add_u64 v[4:5], v[4:5], 0, s[0:1]
	s_andn2_b64 exec, exec, s[2:3]
	s_cbranch_execnz .LBB18_19
.LBB18_20:
	s_endpgm
.LBB18_21:
                                        ; implicit-def: $vgpr2_vgpr3
	s_mov_b64 s[24:25], 0
	s_cbranch_execz .LBB18_14
	s_branch .LBB18_23
.LBB18_22:
	v_mov_b64_e32 v[2:3], s[0:1]
	flat_load_dwordx2 v[2:3], v[2:3]
	s_mov_b64 s[24:25], -1
	s_and_b64 vcc, exec, s[26:27]
	s_cbranch_vccz .LBB18_14
.LBB18_23:
	v_mov_b64_e32 v[6:7], s[0:1]
	flat_load_dwordx2 v[8:9], v[6:7]
	s_mov_b32 s22, 0
	s_brev_b32 s23, 8
	s_waitcnt vmcnt(0) lgkmcnt(0)
	v_mov_b32_e32 v2, 0x100
	v_mov_b32_e32 v10, 0xffffff80
	;; [unrolled: 1-line block ×4, first 2 shown]
	s_mov_b64 s[24:25], s[16:17]
	v_fmac_f64_e32 v[4:5], v[8:9], v[8:9]
	v_cmp_gt_f64_e32 vcc, s[22:23], v[4:5]
	s_nop 1
	v_cndmask_b32_e32 v2, 0, v2, vcc
	v_ldexp_f64 v[2:3], v[4:5], v2
	v_rsq_f64_e32 v[4:5], v[2:3]
	v_cndmask_b32_e32 v15, 0, v10, vcc
	v_cmp_class_f64_e32 vcc, v[2:3], v14
	v_mul_f64 v[10:11], v[2:3], v[4:5]
	v_mul_f64 v[4:5], v[4:5], 0.5
	v_fma_f64 v[12:13], -v[4:5], v[10:11], 0.5
	v_fmac_f64_e32 v[10:11], v[10:11], v[12:13]
	v_fmac_f64_e32 v[4:5], v[4:5], v[12:13]
	v_fma_f64 v[12:13], -v[10:11], v[10:11], v[2:3]
	v_fmac_f64_e32 v[10:11], v[12:13], v[4:5]
	v_fma_f64 v[12:13], -v[10:11], v[10:11], v[2:3]
	v_fmac_f64_e32 v[10:11], v[12:13], v[4:5]
	v_ldexp_f64 v[4:5], v[10:11], v15
	v_cndmask_b32_e32 v3, v5, v3, vcc
	v_cndmask_b32_e32 v2, v4, v2, vcc
	v_xor_b32_e32 v4, 0x80000000, v3
	v_cmp_le_f64_e32 vcc, 0, v[8:9]
	s_nop 1
	v_cndmask_b32_e32 v3, v3, v4, vcc
	v_add_f64 v[4:5], v[8:9], -v[2:3]
	v_div_scale_f64 v[8:9], s[22:23], v[4:5], v[4:5], 1.0
	v_rcp_f64_e32 v[10:11], v[8:9]
	v_div_scale_f64 v[12:13], vcc, 1.0, v[4:5], 1.0
	v_fma_f64 v[14:15], -v[8:9], v[10:11], 1.0
	v_fmac_f64_e32 v[10:11], v[10:11], v[14:15]
	v_fma_f64 v[14:15], -v[8:9], v[10:11], 1.0
	v_fmac_f64_e32 v[10:11], v[10:11], v[14:15]
	v_mul_f64 v[14:15], v[12:13], v[10:11]
	v_fma_f64 v[8:9], -v[8:9], v[14:15], v[12:13]
	v_div_fmas_f64 v[8:9], v[8:9], v[10:11], v[14:15]
	v_div_fixup_f64 v[4:5], v[8:9], v[4:5], 1.0
	ds_write_b64 v16, v[4:5]
	flat_load_dwordx2 v[4:5], v[6:7]
	s_waitcnt vmcnt(0) lgkmcnt(0)
	v_add_f64 v[4:5], v[2:3], -v[4:5]
	v_div_scale_f64 v[6:7], s[22:23], v[2:3], v[2:3], v[4:5]
	v_rcp_f64_e32 v[8:9], v[6:7]
	v_div_scale_f64 v[10:11], vcc, v[4:5], v[2:3], v[4:5]
	s_mov_b64 s[22:23], s[20:21]
	v_fma_f64 v[12:13], -v[6:7], v[8:9], 1.0
	v_fmac_f64_e32 v[8:9], v[8:9], v[12:13]
	v_fma_f64 v[12:13], -v[6:7], v[8:9], 1.0
	v_fmac_f64_e32 v[8:9], v[8:9], v[12:13]
	v_mul_f64 v[12:13], v[10:11], v[8:9]
	v_fma_f64 v[6:7], -v[6:7], v[12:13], v[10:11]
	v_div_fmas_f64 v[6:7], v[6:7], v[8:9], v[12:13]
	v_div_fixup_f64 v[4:5], v[6:7], v[2:3], v[4:5]
	global_store_dwordx2 v16, v[4:5], s[8:9]
	s_andn2_b64 vcc, exec, s[24:25]
	s_cbranch_vccnz .LBB18_15
.LBB18_24:
	v_mov_b32_e32 v4, 0
	s_waitcnt vmcnt(0) lgkmcnt(0)
	global_store_dwordx2 v4, v[2:3], s[18:19]
	v_mov_b64_e32 v[2:3], 1.0
	s_branch .LBB18_16
	.section	.rodata,"a",@progbits
	.p2align	6, 0x0
	.amdhsa_kernel _ZN9rocsolver6v33100L18larfg_kernel_smallILi512EdldPKPdEEvT1_T3_llPT2_llS6_lS5_lPT0_l
		.amdhsa_group_segment_fixed_size 64
		.amdhsa_private_segment_fixed_size 0
		.amdhsa_kernarg_size 104
		.amdhsa_user_sgpr_count 2
		.amdhsa_user_sgpr_dispatch_ptr 0
		.amdhsa_user_sgpr_queue_ptr 0
		.amdhsa_user_sgpr_kernarg_segment_ptr 1
		.amdhsa_user_sgpr_dispatch_id 0
		.amdhsa_user_sgpr_kernarg_preload_length 0
		.amdhsa_user_sgpr_kernarg_preload_offset 0
		.amdhsa_user_sgpr_private_segment_size 0
		.amdhsa_uses_dynamic_stack 0
		.amdhsa_enable_private_segment 0
		.amdhsa_system_sgpr_workgroup_id_x 1
		.amdhsa_system_sgpr_workgroup_id_y 0
		.amdhsa_system_sgpr_workgroup_id_z 1
		.amdhsa_system_sgpr_workgroup_info 0
		.amdhsa_system_vgpr_workitem_id 0
		.amdhsa_next_free_vgpr 17
		.amdhsa_next_free_sgpr 28
		.amdhsa_accum_offset 20
		.amdhsa_reserve_vcc 1
		.amdhsa_float_round_mode_32 0
		.amdhsa_float_round_mode_16_64 0
		.amdhsa_float_denorm_mode_32 3
		.amdhsa_float_denorm_mode_16_64 3
		.amdhsa_dx10_clamp 1
		.amdhsa_ieee_mode 1
		.amdhsa_fp16_overflow 0
		.amdhsa_tg_split 0
		.amdhsa_exception_fp_ieee_invalid_op 0
		.amdhsa_exception_fp_denorm_src 0
		.amdhsa_exception_fp_ieee_div_zero 0
		.amdhsa_exception_fp_ieee_overflow 0
		.amdhsa_exception_fp_ieee_underflow 0
		.amdhsa_exception_fp_ieee_inexact 0
		.amdhsa_exception_int_div_zero 0
	.end_amdhsa_kernel
	.section	.text._ZN9rocsolver6v33100L18larfg_kernel_smallILi512EdldPKPdEEvT1_T3_llPT2_llS6_lS5_lPT0_l,"axG",@progbits,_ZN9rocsolver6v33100L18larfg_kernel_smallILi512EdldPKPdEEvT1_T3_llPT2_llS6_lS5_lPT0_l,comdat
.Lfunc_end18:
	.size	_ZN9rocsolver6v33100L18larfg_kernel_smallILi512EdldPKPdEEvT1_T3_llPT2_llS6_lS5_lPT0_l, .Lfunc_end18-_ZN9rocsolver6v33100L18larfg_kernel_smallILi512EdldPKPdEEvT1_T3_llPT2_llS6_lS5_lPT0_l
                                        ; -- End function
	.set _ZN9rocsolver6v33100L18larfg_kernel_smallILi512EdldPKPdEEvT1_T3_llPT2_llS6_lS5_lPT0_l.num_vgpr, 17
	.set _ZN9rocsolver6v33100L18larfg_kernel_smallILi512EdldPKPdEEvT1_T3_llPT2_llS6_lS5_lPT0_l.num_agpr, 0
	.set _ZN9rocsolver6v33100L18larfg_kernel_smallILi512EdldPKPdEEvT1_T3_llPT2_llS6_lS5_lPT0_l.numbered_sgpr, 28
	.set _ZN9rocsolver6v33100L18larfg_kernel_smallILi512EdldPKPdEEvT1_T3_llPT2_llS6_lS5_lPT0_l.num_named_barrier, 0
	.set _ZN9rocsolver6v33100L18larfg_kernel_smallILi512EdldPKPdEEvT1_T3_llPT2_llS6_lS5_lPT0_l.private_seg_size, 0
	.set _ZN9rocsolver6v33100L18larfg_kernel_smallILi512EdldPKPdEEvT1_T3_llPT2_llS6_lS5_lPT0_l.uses_vcc, 1
	.set _ZN9rocsolver6v33100L18larfg_kernel_smallILi512EdldPKPdEEvT1_T3_llPT2_llS6_lS5_lPT0_l.uses_flat_scratch, 0
	.set _ZN9rocsolver6v33100L18larfg_kernel_smallILi512EdldPKPdEEvT1_T3_llPT2_llS6_lS5_lPT0_l.has_dyn_sized_stack, 0
	.set _ZN9rocsolver6v33100L18larfg_kernel_smallILi512EdldPKPdEEvT1_T3_llPT2_llS6_lS5_lPT0_l.has_recursion, 0
	.set _ZN9rocsolver6v33100L18larfg_kernel_smallILi512EdldPKPdEEvT1_T3_llPT2_llS6_lS5_lPT0_l.has_indirect_call, 0
	.section	.AMDGPU.csdata,"",@progbits
; Kernel info:
; codeLenInByte = 1568
; TotalNumSgprs: 34
; NumVgprs: 17
; NumAgprs: 0
; TotalNumVgprs: 17
; ScratchSize: 0
; MemoryBound: 0
; FloatMode: 240
; IeeeMode: 1
; LDSByteSize: 64 bytes/workgroup (compile time only)
; SGPRBlocks: 4
; VGPRBlocks: 2
; NumSGPRsForWavesPerEU: 34
; NumVGPRsForWavesPerEU: 17
; AccumOffset: 20
; Occupancy: 8
; WaveLimiterHint : 1
; COMPUTE_PGM_RSRC2:SCRATCH_EN: 0
; COMPUTE_PGM_RSRC2:USER_SGPR: 2
; COMPUTE_PGM_RSRC2:TRAP_HANDLER: 0
; COMPUTE_PGM_RSRC2:TGID_X_EN: 1
; COMPUTE_PGM_RSRC2:TGID_Y_EN: 0
; COMPUTE_PGM_RSRC2:TGID_Z_EN: 1
; COMPUTE_PGM_RSRC2:TIDIG_COMP_CNT: 0
; COMPUTE_PGM_RSRC3_GFX90A:ACCUM_OFFSET: 4
; COMPUTE_PGM_RSRC3_GFX90A:TG_SPLIT: 0
	.section	.text._ZN9rocsolver6v33100L18larfg_kernel_smallILi1024EdldPKPdEEvT1_T3_llPT2_llS6_lS5_lPT0_l,"axG",@progbits,_ZN9rocsolver6v33100L18larfg_kernel_smallILi1024EdldPKPdEEvT1_T3_llPT2_llS6_lS5_lPT0_l,comdat
	.globl	_ZN9rocsolver6v33100L18larfg_kernel_smallILi1024EdldPKPdEEvT1_T3_llPT2_llS6_lS5_lPT0_l ; -- Begin function _ZN9rocsolver6v33100L18larfg_kernel_smallILi1024EdldPKPdEEvT1_T3_llPT2_llS6_lS5_lPT0_l
	.p2align	8
	.type	_ZN9rocsolver6v33100L18larfg_kernel_smallILi1024EdldPKPdEEvT1_T3_llPT2_llS6_lS5_lPT0_l,@function
_ZN9rocsolver6v33100L18larfg_kernel_smallILi1024EdldPKPdEEvT1_T3_llPT2_llS6_lS5_lPT0_l: ; @_ZN9rocsolver6v33100L18larfg_kernel_smallILi1024EdldPKPdEEvT1_T3_llPT2_llS6_lS5_lPT0_l
; %bb.0:
	s_mov_b32 s20, s3
	s_load_dwordx4 s[16:19], s[0:1], 0x0
	s_load_dwordx2 s[22:23], s[0:1], 0x10
	s_load_dwordx8 s[4:11], s[0:1], 0x20
	s_load_dwordx4 s[12:15], s[0:1], 0x40
	s_mov_b32 s21, 0
	s_lshl_b64 s[24:25], s[20:21], 3
	s_waitcnt lgkmcnt(0)
	s_add_u32 s2, s18, s24
	s_addc_u32 s3, s19, s25
	s_add_u32 s10, s10, s24
	s_addc_u32 s11, s11, s25
	s_load_dwordx2 s[10:11], s[10:11], 0x0
	s_cmp_eq_u64 s[4:5], 0
	s_mov_b64 s[18:19], 0
	s_cbranch_scc1 .LBB19_2
; %bb.1:
	s_mul_i32 s9, s9, s20
	s_mul_hi_u32 s18, s8, s20
	s_add_i32 s9, s18, s9
	s_mul_i32 s8, s8, s20
	s_lshl_b64 s[8:9], s[8:9], 3
	s_add_u32 s8, s4, s8
	s_addc_u32 s9, s5, s9
	s_lshl_b64 s[4:5], s[6:7], 3
	s_add_u32 s18, s8, s4
	s_addc_u32 s19, s9, s5
.LBB19_2:
	s_load_dwordx2 s[8:9], s[2:3], 0x0
	s_add_u32 s4, s16, -1
	v_mov_b32_e32 v1, 0
	s_addc_u32 s5, s17, -1
	v_cmp_gt_i64_e64 s[2:3], s[4:5], v[0:1]
	v_mov_b64_e32 v[2:3], 0
	s_and_saveexec_b64 s[6:7], s[2:3]
	s_cbranch_execz .LBB19_6
; %bb.3:
	v_mad_u64_u32 v[2:3], s[16:17], s14, v0, 0
	v_mov_b32_e32 v4, v3
	v_mad_u64_u32 v[4:5], s[16:17], s15, v0, v[4:5]
	s_lshl_b64 s[16:17], s[12:13], 3
	s_waitcnt lgkmcnt(0)
	s_add_u32 s16, s10, s16
	v_mov_b32_e32 v3, v4
	s_addc_u32 s17, s11, s17
	v_lshl_add_u64 v[4:5], v[2:3], 3, s[16:17]
	s_lshl_b64 s[16:17], s[14:15], 13
	v_mov_b64_e32 v[2:3], 0
	s_mov_b64 s[24:25], 0
	s_mov_b64 s[26:27], 0x400
	v_mov_b64_e32 v[6:7], v[0:1]
.LBB19_4:                               ; =>This Inner Loop Header: Depth=1
	flat_load_dwordx2 v[8:9], v[4:5]
	v_lshl_add_u64 v[6:7], v[6:7], 0, s[26:27]
	v_cmp_le_i64_e32 vcc, s[4:5], v[6:7]
	v_lshl_add_u64 v[4:5], v[4:5], 0, s[16:17]
	s_or_b64 s[24:25], vcc, s[24:25]
	s_waitcnt vmcnt(0) lgkmcnt(0)
	v_fmac_f64_e32 v[2:3], v[8:9], v[8:9]
	s_andn2_b64 exec, exec, s[24:25]
	s_cbranch_execnz .LBB19_4
; %bb.5:
	s_or_b64 exec, exec, s[24:25]
.LBB19_6:
	s_or_b64 exec, exec, s[6:7]
	v_mbcnt_lo_u32_b32 v4, -1, 0
	v_mbcnt_hi_u32_b32 v6, -1, v4
	v_and_b32_e32 v7, 63, v6
	v_cmp_ne_u32_e32 vcc, 63, v7
	s_nop 1
	v_addc_co_u32_e32 v4, vcc, 0, v6, vcc
	v_lshlrev_b32_e32 v5, 2, v4
	ds_bpermute_b32 v4, v5, v2
	ds_bpermute_b32 v5, v5, v3
	v_cmp_gt_u32_e32 vcc, 62, v7
	s_waitcnt lgkmcnt(0)
	v_add_f64 v[2:3], v[2:3], v[4:5]
	v_cndmask_b32_e64 v4, 0, 2, vcc
	v_add_lshl_u32 v5, v4, v6, 2
	ds_bpermute_b32 v4, v5, v2
	ds_bpermute_b32 v5, v5, v3
	v_cmp_gt_u32_e32 vcc, 60, v7
	s_waitcnt lgkmcnt(0)
	v_add_f64 v[2:3], v[2:3], v[4:5]
	v_cndmask_b32_e64 v4, 0, 4, vcc
	v_add_lshl_u32 v5, v4, v6, 2
	;; [unrolled: 7-line block ×3, first 2 shown]
	ds_bpermute_b32 v4, v5, v2
	ds_bpermute_b32 v5, v5, v3
	v_cmp_gt_u32_e32 vcc, 48, v7
	v_mov_b32_e32 v7, 0x80
	s_waitcnt lgkmcnt(0)
	v_add_f64 v[2:3], v[2:3], v[4:5]
	v_cndmask_b32_e64 v4, 0, 16, vcc
	v_add_lshl_u32 v5, v4, v6, 2
	ds_bpermute_b32 v4, v5, v2
	ds_bpermute_b32 v5, v5, v3
	s_waitcnt lgkmcnt(0)
	v_add_f64 v[2:3], v[2:3], v[4:5]
	v_lshl_or_b32 v5, v6, 2, v7
	ds_bpermute_b32 v4, v5, v2
	ds_bpermute_b32 v5, v5, v3
	v_and_b32_e32 v6, 63, v0
	v_cmp_eq_u32_e32 vcc, 0, v6
	s_waitcnt lgkmcnt(0)
	v_add_f64 v[2:3], v[2:3], v[4:5]
	s_and_saveexec_b64 s[6:7], vcc
; %bb.7:
	v_lshrrev_b32_e32 v4, 3, v0
	ds_write_b64 v4, v[2:3]
; %bb.8:
	s_or_b64 exec, exec, s[6:7]
	v_cmp_eq_u32_e32 vcc, 0, v0
	s_waitcnt lgkmcnt(0)
	s_barrier
	s_and_saveexec_b64 s[6:7], vcc
	s_cbranch_execz .LBB19_10
; %bb.9:
	v_mov_b32_e32 v24, 0
	ds_read2_b64 v[4:7], v24 offset0:1 offset1:2
	ds_read2_b64 v[8:11], v24 offset0:3 offset1:4
	;; [unrolled: 1-line block ×5, first 2 shown]
	s_waitcnt lgkmcnt(4)
	v_add_f64 v[2:3], v[2:3], v[4:5]
	v_add_f64 v[2:3], v[2:3], v[6:7]
	s_waitcnt lgkmcnt(3)
	v_add_f64 v[2:3], v[2:3], v[8:9]
	v_add_f64 v[2:3], v[2:3], v[10:11]
	;; [unrolled: 3-line block ×4, first 2 shown]
	ds_read2_b64 v[2:5], v24 offset0:11 offset1:12
	s_waitcnt lgkmcnt(1)
	v_add_f64 v[10:11], v[6:7], v[20:21]
	ds_read2_b64 v[6:9], v24 offset0:13 offset1:14
	v_add_f64 v[10:11], v[10:11], v[22:23]
	ds_read_b64 v[12:13], v24 offset:120
	s_waitcnt lgkmcnt(2)
	v_add_f64 v[2:3], v[10:11], v[2:3]
	v_add_f64 v[2:3], v[2:3], v[4:5]
	s_waitcnt lgkmcnt(1)
	v_add_f64 v[2:3], v[2:3], v[6:7]
	v_add_f64 v[2:3], v[2:3], v[8:9]
	s_waitcnt lgkmcnt(0)
	v_add_f64 v[2:3], v[2:3], v[12:13]
	ds_write_b64 v24, v[2:3]
.LBB19_10:
	s_or_b64 exec, exec, s[6:7]
	s_waitcnt lgkmcnt(0)
	s_barrier
	s_and_saveexec_b64 s[6:7], vcc
	s_cbranch_execz .LBB19_17
; %bb.11:
	s_load_dwordx4 s[24:27], s[0:1], 0x58
	s_lshl_b64 s[0:1], s[22:23], 3
	s_add_u32 s0, s8, s0
	s_addc_u32 s1, s9, s1
	v_mov_b32_e32 v2, 0
	s_waitcnt lgkmcnt(0)
	s_mul_i32 s8, s27, s20
	s_mul_hi_u32 s9, s26, s20
	s_add_i32 s9, s9, s8
	s_mul_i32 s8, s26, s20
	ds_read_b64 v[4:5], v2
	s_lshl_b64 s[8:9], s[8:9], 3
	s_add_u32 s8, s24, s8
	s_addc_u32 s9, s25, s9
	s_cmp_eq_u64 s[18:19], 0
	s_cselect_b64 s[20:21], -1, 0
	s_cmp_lg_u64 s[18:19], 0
	s_waitcnt lgkmcnt(0)
	v_cmp_nlt_f64_e32 vcc, 0, v[4:5]
	s_mov_b64 s[22:23], 0
	s_cselect_b64 s[16:17], -1, 0
	s_cbranch_vccz .LBB19_21
; %bb.12:
	v_mov_b32_e32 v3, 0x3ff00000
	ds_write_b64 v2, v[2:3]
	v_mov_b32_e32 v3, v2
	s_mov_b64 s[26:27], 0
	s_and_b64 vcc, exec, s[16:17]
	s_mov_b64 s[24:25], 0
	global_store_dwordx2 v2, v[2:3], s[8:9]
                                        ; implicit-def: $vgpr2_vgpr3
	s_cbranch_vccnz .LBB19_22
; %bb.13:
	s_and_b64 vcc, exec, s[26:27]
	s_cbranch_vccnz .LBB19_23
.LBB19_14:
	s_andn2_b64 vcc, exec, s[24:25]
	s_cbranch_vccz .LBB19_24
.LBB19_15:
	s_andn2_b64 vcc, exec, s[22:23]
	s_cbranch_vccnz .LBB19_17
.LBB19_16:
	v_mov_b64_e32 v[4:5], s[0:1]
	s_waitcnt vmcnt(0) lgkmcnt(0)
	flat_store_dwordx2 v[4:5], v[2:3]
.LBB19_17:
	s_or_b64 exec, exec, s[6:7]
	s_waitcnt lgkmcnt(0)
	s_barrier
	s_and_saveexec_b64 s[0:1], s[2:3]
	s_cbranch_execz .LBB19_20
; %bb.18:
	v_mad_u64_u32 v[4:5], s[0:1], s14, v0, 0
	s_waitcnt vmcnt(0)
	v_mov_b32_e32 v2, 0
	v_mov_b32_e32 v6, v5
	ds_read_b64 v[2:3], v2
	v_mad_u64_u32 v[6:7], s[0:1], s15, v0, v[6:7]
	s_lshl_b64 s[0:1], s[12:13], 3
	s_add_u32 s0, s10, s0
	v_mov_b32_e32 v5, v6
	s_addc_u32 s1, s11, s1
	v_lshl_add_u64 v[4:5], v[4:5], 3, s[0:1]
	s_lshl_b64 s[0:1], s[14:15], 13
	s_mov_b64 s[2:3], 0
	s_mov_b64 s[6:7], 0x400
.LBB19_19:                              ; =>This Inner Loop Header: Depth=1
	flat_load_dwordx2 v[6:7], v[4:5]
	v_lshl_add_u64 v[0:1], v[0:1], 0, s[6:7]
	v_cmp_le_i64_e32 vcc, s[4:5], v[0:1]
	s_or_b64 s[2:3], vcc, s[2:3]
	s_waitcnt vmcnt(0) lgkmcnt(0)
	v_mul_f64 v[6:7], v[2:3], v[6:7]
	flat_store_dwordx2 v[4:5], v[6:7]
	v_lshl_add_u64 v[4:5], v[4:5], 0, s[0:1]
	s_andn2_b64 exec, exec, s[2:3]
	s_cbranch_execnz .LBB19_19
.LBB19_20:
	s_endpgm
.LBB19_21:
                                        ; implicit-def: $vgpr2_vgpr3
	s_mov_b64 s[24:25], 0
	s_cbranch_execz .LBB19_14
	s_branch .LBB19_23
.LBB19_22:
	v_mov_b64_e32 v[2:3], s[0:1]
	flat_load_dwordx2 v[2:3], v[2:3]
	s_mov_b64 s[24:25], -1
	s_and_b64 vcc, exec, s[26:27]
	s_cbranch_vccz .LBB19_14
.LBB19_23:
	v_mov_b64_e32 v[6:7], s[0:1]
	flat_load_dwordx2 v[8:9], v[6:7]
	s_mov_b32 s22, 0
	s_brev_b32 s23, 8
	s_waitcnt vmcnt(0) lgkmcnt(0)
	v_mov_b32_e32 v2, 0x100
	v_mov_b32_e32 v10, 0xffffff80
	;; [unrolled: 1-line block ×4, first 2 shown]
	s_mov_b64 s[24:25], s[16:17]
	v_fmac_f64_e32 v[4:5], v[8:9], v[8:9]
	v_cmp_gt_f64_e32 vcc, s[22:23], v[4:5]
	s_nop 1
	v_cndmask_b32_e32 v2, 0, v2, vcc
	v_ldexp_f64 v[2:3], v[4:5], v2
	v_rsq_f64_e32 v[4:5], v[2:3]
	v_cndmask_b32_e32 v15, 0, v10, vcc
	v_cmp_class_f64_e32 vcc, v[2:3], v14
	v_mul_f64 v[10:11], v[2:3], v[4:5]
	v_mul_f64 v[4:5], v[4:5], 0.5
	v_fma_f64 v[12:13], -v[4:5], v[10:11], 0.5
	v_fmac_f64_e32 v[10:11], v[10:11], v[12:13]
	v_fmac_f64_e32 v[4:5], v[4:5], v[12:13]
	v_fma_f64 v[12:13], -v[10:11], v[10:11], v[2:3]
	v_fmac_f64_e32 v[10:11], v[12:13], v[4:5]
	v_fma_f64 v[12:13], -v[10:11], v[10:11], v[2:3]
	v_fmac_f64_e32 v[10:11], v[12:13], v[4:5]
	v_ldexp_f64 v[4:5], v[10:11], v15
	v_cndmask_b32_e32 v3, v5, v3, vcc
	v_cndmask_b32_e32 v2, v4, v2, vcc
	v_xor_b32_e32 v4, 0x80000000, v3
	v_cmp_le_f64_e32 vcc, 0, v[8:9]
	s_nop 1
	v_cndmask_b32_e32 v3, v3, v4, vcc
	v_add_f64 v[4:5], v[8:9], -v[2:3]
	v_div_scale_f64 v[8:9], s[22:23], v[4:5], v[4:5], 1.0
	v_rcp_f64_e32 v[10:11], v[8:9]
	v_div_scale_f64 v[12:13], vcc, 1.0, v[4:5], 1.0
	v_fma_f64 v[14:15], -v[8:9], v[10:11], 1.0
	v_fmac_f64_e32 v[10:11], v[10:11], v[14:15]
	v_fma_f64 v[14:15], -v[8:9], v[10:11], 1.0
	v_fmac_f64_e32 v[10:11], v[10:11], v[14:15]
	v_mul_f64 v[14:15], v[12:13], v[10:11]
	v_fma_f64 v[8:9], -v[8:9], v[14:15], v[12:13]
	v_div_fmas_f64 v[8:9], v[8:9], v[10:11], v[14:15]
	v_div_fixup_f64 v[4:5], v[8:9], v[4:5], 1.0
	ds_write_b64 v16, v[4:5]
	flat_load_dwordx2 v[4:5], v[6:7]
	s_waitcnt vmcnt(0) lgkmcnt(0)
	v_add_f64 v[4:5], v[2:3], -v[4:5]
	v_div_scale_f64 v[6:7], s[22:23], v[2:3], v[2:3], v[4:5]
	v_rcp_f64_e32 v[8:9], v[6:7]
	v_div_scale_f64 v[10:11], vcc, v[4:5], v[2:3], v[4:5]
	s_mov_b64 s[22:23], s[20:21]
	v_fma_f64 v[12:13], -v[6:7], v[8:9], 1.0
	v_fmac_f64_e32 v[8:9], v[8:9], v[12:13]
	v_fma_f64 v[12:13], -v[6:7], v[8:9], 1.0
	v_fmac_f64_e32 v[8:9], v[8:9], v[12:13]
	v_mul_f64 v[12:13], v[10:11], v[8:9]
	v_fma_f64 v[6:7], -v[6:7], v[12:13], v[10:11]
	v_div_fmas_f64 v[6:7], v[6:7], v[8:9], v[12:13]
	v_div_fixup_f64 v[4:5], v[6:7], v[2:3], v[4:5]
	global_store_dwordx2 v16, v[4:5], s[8:9]
	s_andn2_b64 vcc, exec, s[24:25]
	s_cbranch_vccnz .LBB19_15
.LBB19_24:
	v_mov_b32_e32 v4, 0
	s_waitcnt vmcnt(0) lgkmcnt(0)
	global_store_dwordx2 v4, v[2:3], s[18:19]
	v_mov_b64_e32 v[2:3], 1.0
	s_branch .LBB19_16
	.section	.rodata,"a",@progbits
	.p2align	6, 0x0
	.amdhsa_kernel _ZN9rocsolver6v33100L18larfg_kernel_smallILi1024EdldPKPdEEvT1_T3_llPT2_llS6_lS5_lPT0_l
		.amdhsa_group_segment_fixed_size 128
		.amdhsa_private_segment_fixed_size 0
		.amdhsa_kernarg_size 104
		.amdhsa_user_sgpr_count 2
		.amdhsa_user_sgpr_dispatch_ptr 0
		.amdhsa_user_sgpr_queue_ptr 0
		.amdhsa_user_sgpr_kernarg_segment_ptr 1
		.amdhsa_user_sgpr_dispatch_id 0
		.amdhsa_user_sgpr_kernarg_preload_length 0
		.amdhsa_user_sgpr_kernarg_preload_offset 0
		.amdhsa_user_sgpr_private_segment_size 0
		.amdhsa_uses_dynamic_stack 0
		.amdhsa_enable_private_segment 0
		.amdhsa_system_sgpr_workgroup_id_x 1
		.amdhsa_system_sgpr_workgroup_id_y 0
		.amdhsa_system_sgpr_workgroup_id_z 1
		.amdhsa_system_sgpr_workgroup_info 0
		.amdhsa_system_vgpr_workitem_id 0
		.amdhsa_next_free_vgpr 25
		.amdhsa_next_free_sgpr 28
		.amdhsa_accum_offset 28
		.amdhsa_reserve_vcc 1
		.amdhsa_float_round_mode_32 0
		.amdhsa_float_round_mode_16_64 0
		.amdhsa_float_denorm_mode_32 3
		.amdhsa_float_denorm_mode_16_64 3
		.amdhsa_dx10_clamp 1
		.amdhsa_ieee_mode 1
		.amdhsa_fp16_overflow 0
		.amdhsa_tg_split 0
		.amdhsa_exception_fp_ieee_invalid_op 0
		.amdhsa_exception_fp_denorm_src 0
		.amdhsa_exception_fp_ieee_div_zero 0
		.amdhsa_exception_fp_ieee_overflow 0
		.amdhsa_exception_fp_ieee_underflow 0
		.amdhsa_exception_fp_ieee_inexact 0
		.amdhsa_exception_int_div_zero 0
	.end_amdhsa_kernel
	.section	.text._ZN9rocsolver6v33100L18larfg_kernel_smallILi1024EdldPKPdEEvT1_T3_llPT2_llS6_lS5_lPT0_l,"axG",@progbits,_ZN9rocsolver6v33100L18larfg_kernel_smallILi1024EdldPKPdEEvT1_T3_llPT2_llS6_lS5_lPT0_l,comdat
.Lfunc_end19:
	.size	_ZN9rocsolver6v33100L18larfg_kernel_smallILi1024EdldPKPdEEvT1_T3_llPT2_llS6_lS5_lPT0_l, .Lfunc_end19-_ZN9rocsolver6v33100L18larfg_kernel_smallILi1024EdldPKPdEEvT1_T3_llPT2_llS6_lS5_lPT0_l
                                        ; -- End function
	.set _ZN9rocsolver6v33100L18larfg_kernel_smallILi1024EdldPKPdEEvT1_T3_llPT2_llS6_lS5_lPT0_l.num_vgpr, 25
	.set _ZN9rocsolver6v33100L18larfg_kernel_smallILi1024EdldPKPdEEvT1_T3_llPT2_llS6_lS5_lPT0_l.num_agpr, 0
	.set _ZN9rocsolver6v33100L18larfg_kernel_smallILi1024EdldPKPdEEvT1_T3_llPT2_llS6_lS5_lPT0_l.numbered_sgpr, 28
	.set _ZN9rocsolver6v33100L18larfg_kernel_smallILi1024EdldPKPdEEvT1_T3_llPT2_llS6_lS5_lPT0_l.num_named_barrier, 0
	.set _ZN9rocsolver6v33100L18larfg_kernel_smallILi1024EdldPKPdEEvT1_T3_llPT2_llS6_lS5_lPT0_l.private_seg_size, 0
	.set _ZN9rocsolver6v33100L18larfg_kernel_smallILi1024EdldPKPdEEvT1_T3_llPT2_llS6_lS5_lPT0_l.uses_vcc, 1
	.set _ZN9rocsolver6v33100L18larfg_kernel_smallILi1024EdldPKPdEEvT1_T3_llPT2_llS6_lS5_lPT0_l.uses_flat_scratch, 0
	.set _ZN9rocsolver6v33100L18larfg_kernel_smallILi1024EdldPKPdEEvT1_T3_llPT2_llS6_lS5_lPT0_l.has_dyn_sized_stack, 0
	.set _ZN9rocsolver6v33100L18larfg_kernel_smallILi1024EdldPKPdEEvT1_T3_llPT2_llS6_lS5_lPT0_l.has_recursion, 0
	.set _ZN9rocsolver6v33100L18larfg_kernel_smallILi1024EdldPKPdEEvT1_T3_llPT2_llS6_lS5_lPT0_l.has_indirect_call, 0
	.section	.AMDGPU.csdata,"",@progbits
; Kernel info:
; codeLenInByte = 1680
; TotalNumSgprs: 34
; NumVgprs: 25
; NumAgprs: 0
; TotalNumVgprs: 25
; ScratchSize: 0
; MemoryBound: 0
; FloatMode: 240
; IeeeMode: 1
; LDSByteSize: 128 bytes/workgroup (compile time only)
; SGPRBlocks: 4
; VGPRBlocks: 3
; NumSGPRsForWavesPerEU: 34
; NumVGPRsForWavesPerEU: 25
; AccumOffset: 28
; Occupancy: 8
; WaveLimiterHint : 1
; COMPUTE_PGM_RSRC2:SCRATCH_EN: 0
; COMPUTE_PGM_RSRC2:USER_SGPR: 2
; COMPUTE_PGM_RSRC2:TRAP_HANDLER: 0
; COMPUTE_PGM_RSRC2:TGID_X_EN: 1
; COMPUTE_PGM_RSRC2:TGID_Y_EN: 0
; COMPUTE_PGM_RSRC2:TGID_Z_EN: 1
; COMPUTE_PGM_RSRC2:TIDIG_COMP_CNT: 0
; COMPUTE_PGM_RSRC3_GFX90A:ACCUM_OFFSET: 6
; COMPUTE_PGM_RSRC3_GFX90A:TG_SPLIT: 0
	.section	.AMDGPU.gpr_maximums,"",@progbits
	.set amdgpu.max_num_vgpr, 0
	.set amdgpu.max_num_agpr, 0
	.set amdgpu.max_num_sgpr, 0
	.section	.AMDGPU.csdata,"",@progbits
	.type	__hip_cuid_2fee1a1290523ee5,@object ; @__hip_cuid_2fee1a1290523ee5
	.section	.bss,"aw",@nobits
	.globl	__hip_cuid_2fee1a1290523ee5
__hip_cuid_2fee1a1290523ee5:
	.byte	0                               ; 0x0
	.size	__hip_cuid_2fee1a1290523ee5, 1

	.ident	"AMD clang version 22.0.0git (https://github.com/RadeonOpenCompute/llvm-project roc-7.2.4 26084 f58b06dce1f9c15707c5f808fd002e18c2accf7e)"
	.section	".note.GNU-stack","",@progbits
	.addrsig
	.addrsig_sym __hip_cuid_2fee1a1290523ee5
	.amdgpu_metadata
---
amdhsa.kernels:
  - .agpr_count:     0
    .args:
      - .offset:         0
        .size:           4
        .value_kind:     by_value
      - .address_space:  global
        .offset:         8
        .size:           8
        .value_kind:     global_buffer
      - .offset:         16
        .size:           8
        .value_kind:     by_value
      - .offset:         24
        .size:           8
        .value_kind:     by_value
      - .address_space:  global
        .offset:         32
        .size:           8
        .value_kind:     global_buffer
      - .offset:         40
        .size:           8
        .value_kind:     by_value
      - .offset:         48
        .size:           8
        .value_kind:     by_value
      - .address_space:  global
        .offset:         56
        .size:           8
        .value_kind:     global_buffer
      - .offset:         64
        .size:           8
        .value_kind:     by_value
      - .offset:         72
        .size:           4
        .value_kind:     by_value
      - .offset:         80
        .size:           8
        .value_kind:     by_value
      - .address_space:  global
        .offset:         88
        .size:           8
        .value_kind:     global_buffer
      - .offset:         96
        .size:           8
        .value_kind:     by_value
    .group_segment_fixed_size: 8
    .kernarg_segment_align: 8
    .kernarg_segment_size: 104
    .language:       OpenCL C
    .language_version:
      - 2
      - 0
    .max_flat_workgroup_size: 64
    .name:           _ZN9rocsolver6v33100L18larfg_kernel_smallILi64EdidPdEEvT1_T3_llPT2_llS4_lS3_lPT0_l
    .private_segment_fixed_size: 0
    .sgpr_count:     32
    .sgpr_spill_count: 0
    .symbol:         _ZN9rocsolver6v33100L18larfg_kernel_smallILi64EdidPdEEvT1_T3_llPT2_llS4_lS3_lPT0_l.kd
    .uniform_work_group_size: 1
    .uses_dynamic_stack: false
    .vgpr_count:     26
    .vgpr_spill_count: 0
    .wavefront_size: 64
  - .agpr_count:     0
    .args:
      - .offset:         0
        .size:           4
        .value_kind:     by_value
      - .address_space:  global
        .offset:         8
        .size:           8
        .value_kind:     global_buffer
      - .offset:         16
        .size:           8
        .value_kind:     by_value
      - .offset:         24
        .size:           8
        .value_kind:     by_value
      - .address_space:  global
        .offset:         32
        .size:           8
        .value_kind:     global_buffer
      - .offset:         40
        .size:           8
        .value_kind:     by_value
      - .offset:         48
        .size:           8
        .value_kind:     by_value
      - .address_space:  global
        .offset:         56
        .size:           8
        .value_kind:     global_buffer
      - .offset:         64
        .size:           8
        .value_kind:     by_value
      - .offset:         72
        .size:           4
        .value_kind:     by_value
      - .offset:         80
        .size:           8
        .value_kind:     by_value
      - .address_space:  global
        .offset:         88
        .size:           8
        .value_kind:     global_buffer
      - .offset:         96
        .size:           8
        .value_kind:     by_value
    .group_segment_fixed_size: 16
    .kernarg_segment_align: 8
    .kernarg_segment_size: 104
    .language:       OpenCL C
    .language_version:
      - 2
      - 0
    .max_flat_workgroup_size: 128
    .name:           _ZN9rocsolver6v33100L18larfg_kernel_smallILi128EdidPdEEvT1_T3_llPT2_llS4_lS3_lPT0_l
    .private_segment_fixed_size: 0
    .sgpr_count:     32
    .sgpr_spill_count: 0
    .symbol:         _ZN9rocsolver6v33100L18larfg_kernel_smallILi128EdidPdEEvT1_T3_llPT2_llS4_lS3_lPT0_l.kd
    .uniform_work_group_size: 1
    .uses_dynamic_stack: false
    .vgpr_count:     26
    .vgpr_spill_count: 0
    .wavefront_size: 64
  - .agpr_count:     0
    .args:
      - .offset:         0
        .size:           4
        .value_kind:     by_value
      - .address_space:  global
        .offset:         8
        .size:           8
        .value_kind:     global_buffer
      - .offset:         16
        .size:           8
        .value_kind:     by_value
      - .offset:         24
        .size:           8
        .value_kind:     by_value
      - .address_space:  global
        .offset:         32
        .size:           8
        .value_kind:     global_buffer
      - .offset:         40
        .size:           8
        .value_kind:     by_value
      - .offset:         48
        .size:           8
        .value_kind:     by_value
      - .address_space:  global
        .offset:         56
        .size:           8
        .value_kind:     global_buffer
      - .offset:         64
        .size:           8
        .value_kind:     by_value
      - .offset:         72
        .size:           4
        .value_kind:     by_value
      - .offset:         80
        .size:           8
        .value_kind:     by_value
      - .address_space:  global
        .offset:         88
        .size:           8
        .value_kind:     global_buffer
      - .offset:         96
        .size:           8
        .value_kind:     by_value
    .group_segment_fixed_size: 32
    .kernarg_segment_align: 8
    .kernarg_segment_size: 104
    .language:       OpenCL C
    .language_version:
      - 2
      - 0
    .max_flat_workgroup_size: 256
    .name:           _ZN9rocsolver6v33100L18larfg_kernel_smallILi256EdidPdEEvT1_T3_llPT2_llS4_lS3_lPT0_l
    .private_segment_fixed_size: 0
    .sgpr_count:     32
    .sgpr_spill_count: 0
    .symbol:         _ZN9rocsolver6v33100L18larfg_kernel_smallILi256EdidPdEEvT1_T3_llPT2_llS4_lS3_lPT0_l.kd
    .uniform_work_group_size: 1
    .uses_dynamic_stack: false
    .vgpr_count:     26
    .vgpr_spill_count: 0
    .wavefront_size: 64
  - .agpr_count:     0
    .args:
      - .offset:         0
        .size:           4
        .value_kind:     by_value
      - .address_space:  global
        .offset:         8
        .size:           8
        .value_kind:     global_buffer
      - .offset:         16
        .size:           8
        .value_kind:     by_value
      - .offset:         24
        .size:           8
        .value_kind:     by_value
      - .address_space:  global
        .offset:         32
        .size:           8
        .value_kind:     global_buffer
      - .offset:         40
        .size:           8
        .value_kind:     by_value
      - .offset:         48
        .size:           8
        .value_kind:     by_value
      - .address_space:  global
        .offset:         56
        .size:           8
        .value_kind:     global_buffer
      - .offset:         64
        .size:           8
        .value_kind:     by_value
      - .offset:         72
        .size:           4
        .value_kind:     by_value
      - .offset:         80
        .size:           8
        .value_kind:     by_value
      - .address_space:  global
        .offset:         88
        .size:           8
        .value_kind:     global_buffer
      - .offset:         96
        .size:           8
        .value_kind:     by_value
    .group_segment_fixed_size: 64
    .kernarg_segment_align: 8
    .kernarg_segment_size: 104
    .language:       OpenCL C
    .language_version:
      - 2
      - 0
    .max_flat_workgroup_size: 512
    .name:           _ZN9rocsolver6v33100L18larfg_kernel_smallILi512EdidPdEEvT1_T3_llPT2_llS4_lS3_lPT0_l
    .private_segment_fixed_size: 0
    .sgpr_count:     32
    .sgpr_spill_count: 0
    .symbol:         _ZN9rocsolver6v33100L18larfg_kernel_smallILi512EdidPdEEvT1_T3_llPT2_llS4_lS3_lPT0_l.kd
    .uniform_work_group_size: 1
    .uses_dynamic_stack: false
    .vgpr_count:     26
    .vgpr_spill_count: 0
    .wavefront_size: 64
  - .agpr_count:     0
    .args:
      - .offset:         0
        .size:           4
        .value_kind:     by_value
      - .address_space:  global
        .offset:         8
        .size:           8
        .value_kind:     global_buffer
      - .offset:         16
        .size:           8
        .value_kind:     by_value
      - .offset:         24
        .size:           8
        .value_kind:     by_value
      - .address_space:  global
        .offset:         32
        .size:           8
        .value_kind:     global_buffer
      - .offset:         40
        .size:           8
        .value_kind:     by_value
      - .offset:         48
        .size:           8
        .value_kind:     by_value
      - .address_space:  global
        .offset:         56
        .size:           8
        .value_kind:     global_buffer
      - .offset:         64
        .size:           8
        .value_kind:     by_value
      - .offset:         72
        .size:           4
        .value_kind:     by_value
      - .offset:         80
        .size:           8
        .value_kind:     by_value
      - .address_space:  global
        .offset:         88
        .size:           8
        .value_kind:     global_buffer
      - .offset:         96
        .size:           8
        .value_kind:     by_value
    .group_segment_fixed_size: 128
    .kernarg_segment_align: 8
    .kernarg_segment_size: 104
    .language:       OpenCL C
    .language_version:
      - 2
      - 0
    .max_flat_workgroup_size: 1024
    .name:           _ZN9rocsolver6v33100L18larfg_kernel_smallILi1024EdidPdEEvT1_T3_llPT2_llS4_lS3_lPT0_l
    .private_segment_fixed_size: 0
    .sgpr_count:     32
    .sgpr_spill_count: 0
    .symbol:         _ZN9rocsolver6v33100L18larfg_kernel_smallILi1024EdidPdEEvT1_T3_llPT2_llS4_lS3_lPT0_l.kd
    .uniform_work_group_size: 1
    .uses_dynamic_stack: false
    .vgpr_count:     26
    .vgpr_spill_count: 0
    .wavefront_size: 64
  - .agpr_count:     0
    .args:
      - .offset:         0
        .size:           4
        .value_kind:     by_value
      - .address_space:  global
        .offset:         8
        .size:           8
        .value_kind:     global_buffer
      - .offset:         16
        .size:           8
        .value_kind:     by_value
      - .offset:         24
        .size:           8
        .value_kind:     by_value
      - .address_space:  global
        .offset:         32
        .size:           8
        .value_kind:     global_buffer
      - .offset:         40
        .size:           8
        .value_kind:     by_value
      - .offset:         48
        .size:           8
        .value_kind:     by_value
      - .address_space:  global
        .offset:         56
        .size:           8
        .value_kind:     global_buffer
      - .offset:         64
        .size:           8
        .value_kind:     by_value
      - .offset:         72
        .size:           4
        .value_kind:     by_value
      - .offset:         80
        .size:           8
        .value_kind:     by_value
      - .address_space:  global
        .offset:         88
        .size:           8
        .value_kind:     global_buffer
      - .offset:         96
        .size:           8
        .value_kind:     by_value
    .group_segment_fixed_size: 8
    .kernarg_segment_align: 8
    .kernarg_segment_size: 104
    .language:       OpenCL C
    .language_version:
      - 2
      - 0
    .max_flat_workgroup_size: 64
    .name:           _ZN9rocsolver6v33100L18larfg_kernel_smallILi64EdidPKPdEEvT1_T3_llPT2_llS6_lS5_lPT0_l
    .private_segment_fixed_size: 0
    .sgpr_count:     34
    .sgpr_spill_count: 0
    .symbol:         _ZN9rocsolver6v33100L18larfg_kernel_smallILi64EdidPKPdEEvT1_T3_llPT2_llS6_lS5_lPT0_l.kd
    .uniform_work_group_size: 1
    .uses_dynamic_stack: false
    .vgpr_count:     18
    .vgpr_spill_count: 0
    .wavefront_size: 64
  - .agpr_count:     0
    .args:
      - .offset:         0
        .size:           4
        .value_kind:     by_value
      - .address_space:  global
        .offset:         8
        .size:           8
        .value_kind:     global_buffer
      - .offset:         16
        .size:           8
        .value_kind:     by_value
      - .offset:         24
        .size:           8
        .value_kind:     by_value
      - .address_space:  global
        .offset:         32
        .size:           8
        .value_kind:     global_buffer
      - .offset:         40
        .size:           8
        .value_kind:     by_value
      - .offset:         48
        .size:           8
        .value_kind:     by_value
      - .address_space:  global
        .offset:         56
        .size:           8
        .value_kind:     global_buffer
      - .offset:         64
        .size:           8
        .value_kind:     by_value
      - .offset:         72
        .size:           4
        .value_kind:     by_value
      - .offset:         80
        .size:           8
        .value_kind:     by_value
      - .address_space:  global
        .offset:         88
        .size:           8
        .value_kind:     global_buffer
      - .offset:         96
        .size:           8
        .value_kind:     by_value
    .group_segment_fixed_size: 16
    .kernarg_segment_align: 8
    .kernarg_segment_size: 104
    .language:       OpenCL C
    .language_version:
      - 2
      - 0
    .max_flat_workgroup_size: 128
    .name:           _ZN9rocsolver6v33100L18larfg_kernel_smallILi128EdidPKPdEEvT1_T3_llPT2_llS6_lS5_lPT0_l
    .private_segment_fixed_size: 0
    .sgpr_count:     34
    .sgpr_spill_count: 0
    .symbol:         _ZN9rocsolver6v33100L18larfg_kernel_smallILi128EdidPKPdEEvT1_T3_llPT2_llS6_lS5_lPT0_l.kd
    .uniform_work_group_size: 1
    .uses_dynamic_stack: false
    .vgpr_count:     18
    .vgpr_spill_count: 0
    .wavefront_size: 64
  - .agpr_count:     0
    .args:
      - .offset:         0
        .size:           4
        .value_kind:     by_value
      - .address_space:  global
        .offset:         8
        .size:           8
        .value_kind:     global_buffer
      - .offset:         16
        .size:           8
        .value_kind:     by_value
      - .offset:         24
        .size:           8
        .value_kind:     by_value
      - .address_space:  global
        .offset:         32
        .size:           8
        .value_kind:     global_buffer
      - .offset:         40
        .size:           8
        .value_kind:     by_value
      - .offset:         48
        .size:           8
        .value_kind:     by_value
      - .address_space:  global
        .offset:         56
        .size:           8
        .value_kind:     global_buffer
      - .offset:         64
        .size:           8
        .value_kind:     by_value
      - .offset:         72
        .size:           4
        .value_kind:     by_value
      - .offset:         80
        .size:           8
        .value_kind:     by_value
      - .address_space:  global
        .offset:         88
        .size:           8
        .value_kind:     global_buffer
      - .offset:         96
        .size:           8
        .value_kind:     by_value
    .group_segment_fixed_size: 32
    .kernarg_segment_align: 8
    .kernarg_segment_size: 104
    .language:       OpenCL C
    .language_version:
      - 2
      - 0
    .max_flat_workgroup_size: 256
    .name:           _ZN9rocsolver6v33100L18larfg_kernel_smallILi256EdidPKPdEEvT1_T3_llPT2_llS6_lS5_lPT0_l
    .private_segment_fixed_size: 0
    .sgpr_count:     34
    .sgpr_spill_count: 0
    .symbol:         _ZN9rocsolver6v33100L18larfg_kernel_smallILi256EdidPKPdEEvT1_T3_llPT2_llS6_lS5_lPT0_l.kd
    .uniform_work_group_size: 1
    .uses_dynamic_stack: false
    .vgpr_count:     18
    .vgpr_spill_count: 0
    .wavefront_size: 64
  - .agpr_count:     0
    .args:
      - .offset:         0
        .size:           4
        .value_kind:     by_value
      - .address_space:  global
        .offset:         8
        .size:           8
        .value_kind:     global_buffer
      - .offset:         16
        .size:           8
        .value_kind:     by_value
      - .offset:         24
        .size:           8
        .value_kind:     by_value
      - .address_space:  global
        .offset:         32
        .size:           8
        .value_kind:     global_buffer
      - .offset:         40
        .size:           8
        .value_kind:     by_value
      - .offset:         48
        .size:           8
        .value_kind:     by_value
      - .address_space:  global
        .offset:         56
        .size:           8
        .value_kind:     global_buffer
      - .offset:         64
        .size:           8
        .value_kind:     by_value
      - .offset:         72
        .size:           4
        .value_kind:     by_value
      - .offset:         80
        .size:           8
        .value_kind:     by_value
      - .address_space:  global
        .offset:         88
        .size:           8
        .value_kind:     global_buffer
      - .offset:         96
        .size:           8
        .value_kind:     by_value
    .group_segment_fixed_size: 64
    .kernarg_segment_align: 8
    .kernarg_segment_size: 104
    .language:       OpenCL C
    .language_version:
      - 2
      - 0
    .max_flat_workgroup_size: 512
    .name:           _ZN9rocsolver6v33100L18larfg_kernel_smallILi512EdidPKPdEEvT1_T3_llPT2_llS6_lS5_lPT0_l
    .private_segment_fixed_size: 0
    .sgpr_count:     34
    .sgpr_spill_count: 0
    .symbol:         _ZN9rocsolver6v33100L18larfg_kernel_smallILi512EdidPKPdEEvT1_T3_llPT2_llS6_lS5_lPT0_l.kd
    .uniform_work_group_size: 1
    .uses_dynamic_stack: false
    .vgpr_count:     18
    .vgpr_spill_count: 0
    .wavefront_size: 64
  - .agpr_count:     0
    .args:
      - .offset:         0
        .size:           4
        .value_kind:     by_value
      - .address_space:  global
        .offset:         8
        .size:           8
        .value_kind:     global_buffer
      - .offset:         16
        .size:           8
        .value_kind:     by_value
      - .offset:         24
        .size:           8
        .value_kind:     by_value
      - .address_space:  global
        .offset:         32
        .size:           8
        .value_kind:     global_buffer
      - .offset:         40
        .size:           8
        .value_kind:     by_value
      - .offset:         48
        .size:           8
        .value_kind:     by_value
      - .address_space:  global
        .offset:         56
        .size:           8
        .value_kind:     global_buffer
      - .offset:         64
        .size:           8
        .value_kind:     by_value
      - .offset:         72
        .size:           4
        .value_kind:     by_value
      - .offset:         80
        .size:           8
        .value_kind:     by_value
      - .address_space:  global
        .offset:         88
        .size:           8
        .value_kind:     global_buffer
      - .offset:         96
        .size:           8
        .value_kind:     by_value
    .group_segment_fixed_size: 128
    .kernarg_segment_align: 8
    .kernarg_segment_size: 104
    .language:       OpenCL C
    .language_version:
      - 2
      - 0
    .max_flat_workgroup_size: 1024
    .name:           _ZN9rocsolver6v33100L18larfg_kernel_smallILi1024EdidPKPdEEvT1_T3_llPT2_llS6_lS5_lPT0_l
    .private_segment_fixed_size: 0
    .sgpr_count:     34
    .sgpr_spill_count: 0
    .symbol:         _ZN9rocsolver6v33100L18larfg_kernel_smallILi1024EdidPKPdEEvT1_T3_llPT2_llS6_lS5_lPT0_l.kd
    .uniform_work_group_size: 1
    .uses_dynamic_stack: false
    .vgpr_count:     26
    .vgpr_spill_count: 0
    .wavefront_size: 64
  - .agpr_count:     0
    .args:
      - .offset:         0
        .size:           8
        .value_kind:     by_value
      - .address_space:  global
        .offset:         8
        .size:           8
        .value_kind:     global_buffer
      - .offset:         16
        .size:           8
        .value_kind:     by_value
      - .offset:         24
        .size:           8
        .value_kind:     by_value
      - .address_space:  global
        .offset:         32
        .size:           8
        .value_kind:     global_buffer
      - .offset:         40
        .size:           8
        .value_kind:     by_value
      - .offset:         48
        .size:           8
        .value_kind:     by_value
      - .address_space:  global
        .offset:         56
        .size:           8
        .value_kind:     global_buffer
      - .offset:         64
        .size:           8
        .value_kind:     by_value
      - .offset:         72
        .size:           8
        .value_kind:     by_value
      - .offset:         80
        .size:           8
        .value_kind:     by_value
      - .address_space:  global
        .offset:         88
        .size:           8
        .value_kind:     global_buffer
      - .offset:         96
        .size:           8
        .value_kind:     by_value
    .group_segment_fixed_size: 8
    .kernarg_segment_align: 8
    .kernarg_segment_size: 104
    .language:       OpenCL C
    .language_version:
      - 2
      - 0
    .max_flat_workgroup_size: 64
    .name:           _ZN9rocsolver6v33100L18larfg_kernel_smallILi64EdldPdEEvT1_T3_llPT2_llS4_lS3_lPT0_l
    .private_segment_fixed_size: 0
    .sgpr_count:     41
    .sgpr_spill_count: 0
    .symbol:         _ZN9rocsolver6v33100L18larfg_kernel_smallILi64EdldPdEEvT1_T3_llPT2_llS4_lS3_lPT0_l.kd
    .uniform_work_group_size: 1
    .uses_dynamic_stack: false
    .vgpr_count:     25
    .vgpr_spill_count: 0
    .wavefront_size: 64
  - .agpr_count:     0
    .args:
      - .offset:         0
        .size:           8
        .value_kind:     by_value
      - .address_space:  global
        .offset:         8
        .size:           8
        .value_kind:     global_buffer
      - .offset:         16
        .size:           8
        .value_kind:     by_value
      - .offset:         24
        .size:           8
        .value_kind:     by_value
      - .address_space:  global
        .offset:         32
        .size:           8
        .value_kind:     global_buffer
      - .offset:         40
        .size:           8
        .value_kind:     by_value
      - .offset:         48
        .size:           8
        .value_kind:     by_value
      - .address_space:  global
        .offset:         56
        .size:           8
        .value_kind:     global_buffer
      - .offset:         64
        .size:           8
        .value_kind:     by_value
      - .offset:         72
        .size:           8
        .value_kind:     by_value
      - .offset:         80
        .size:           8
        .value_kind:     by_value
      - .address_space:  global
        .offset:         88
        .size:           8
        .value_kind:     global_buffer
      - .offset:         96
        .size:           8
        .value_kind:     by_value
    .group_segment_fixed_size: 16
    .kernarg_segment_align: 8
    .kernarg_segment_size: 104
    .language:       OpenCL C
    .language_version:
      - 2
      - 0
    .max_flat_workgroup_size: 128
    .name:           _ZN9rocsolver6v33100L18larfg_kernel_smallILi128EdldPdEEvT1_T3_llPT2_llS4_lS3_lPT0_l
    .private_segment_fixed_size: 0
    .sgpr_count:     43
    .sgpr_spill_count: 0
    .symbol:         _ZN9rocsolver6v33100L18larfg_kernel_smallILi128EdldPdEEvT1_T3_llPT2_llS4_lS3_lPT0_l.kd
    .uniform_work_group_size: 1
    .uses_dynamic_stack: false
    .vgpr_count:     25
    .vgpr_spill_count: 0
    .wavefront_size: 64
  - .agpr_count:     0
    .args:
      - .offset:         0
        .size:           8
        .value_kind:     by_value
      - .address_space:  global
        .offset:         8
        .size:           8
        .value_kind:     global_buffer
      - .offset:         16
        .size:           8
        .value_kind:     by_value
      - .offset:         24
        .size:           8
        .value_kind:     by_value
      - .address_space:  global
        .offset:         32
        .size:           8
        .value_kind:     global_buffer
      - .offset:         40
        .size:           8
        .value_kind:     by_value
      - .offset:         48
        .size:           8
        .value_kind:     by_value
      - .address_space:  global
        .offset:         56
        .size:           8
        .value_kind:     global_buffer
      - .offset:         64
        .size:           8
        .value_kind:     by_value
      - .offset:         72
        .size:           8
        .value_kind:     by_value
      - .offset:         80
        .size:           8
        .value_kind:     by_value
      - .address_space:  global
        .offset:         88
        .size:           8
        .value_kind:     global_buffer
      - .offset:         96
        .size:           8
        .value_kind:     by_value
    .group_segment_fixed_size: 32
    .kernarg_segment_align: 8
    .kernarg_segment_size: 104
    .language:       OpenCL C
    .language_version:
      - 2
      - 0
    .max_flat_workgroup_size: 256
    .name:           _ZN9rocsolver6v33100L18larfg_kernel_smallILi256EdldPdEEvT1_T3_llPT2_llS4_lS3_lPT0_l
    .private_segment_fixed_size: 0
    .sgpr_count:     43
    .sgpr_spill_count: 0
    .symbol:         _ZN9rocsolver6v33100L18larfg_kernel_smallILi256EdldPdEEvT1_T3_llPT2_llS4_lS3_lPT0_l.kd
    .uniform_work_group_size: 1
    .uses_dynamic_stack: false
    .vgpr_count:     25
    .vgpr_spill_count: 0
    .wavefront_size: 64
  - .agpr_count:     0
    .args:
      - .offset:         0
        .size:           8
        .value_kind:     by_value
      - .address_space:  global
        .offset:         8
        .size:           8
        .value_kind:     global_buffer
      - .offset:         16
        .size:           8
        .value_kind:     by_value
      - .offset:         24
        .size:           8
        .value_kind:     by_value
      - .address_space:  global
        .offset:         32
        .size:           8
        .value_kind:     global_buffer
      - .offset:         40
        .size:           8
        .value_kind:     by_value
      - .offset:         48
        .size:           8
        .value_kind:     by_value
      - .address_space:  global
        .offset:         56
        .size:           8
        .value_kind:     global_buffer
      - .offset:         64
        .size:           8
        .value_kind:     by_value
      - .offset:         72
        .size:           8
        .value_kind:     by_value
      - .offset:         80
        .size:           8
        .value_kind:     by_value
      - .address_space:  global
        .offset:         88
        .size:           8
        .value_kind:     global_buffer
      - .offset:         96
        .size:           8
        .value_kind:     by_value
    .group_segment_fixed_size: 64
    .kernarg_segment_align: 8
    .kernarg_segment_size: 104
    .language:       OpenCL C
    .language_version:
      - 2
      - 0
    .max_flat_workgroup_size: 512
    .name:           _ZN9rocsolver6v33100L18larfg_kernel_smallILi512EdldPdEEvT1_T3_llPT2_llS4_lS3_lPT0_l
    .private_segment_fixed_size: 0
    .sgpr_count:     43
    .sgpr_spill_count: 0
    .symbol:         _ZN9rocsolver6v33100L18larfg_kernel_smallILi512EdldPdEEvT1_T3_llPT2_llS4_lS3_lPT0_l.kd
    .uniform_work_group_size: 1
    .uses_dynamic_stack: false
    .vgpr_count:     25
    .vgpr_spill_count: 0
    .wavefront_size: 64
  - .agpr_count:     0
    .args:
      - .offset:         0
        .size:           8
        .value_kind:     by_value
      - .address_space:  global
        .offset:         8
        .size:           8
        .value_kind:     global_buffer
      - .offset:         16
        .size:           8
        .value_kind:     by_value
      - .offset:         24
        .size:           8
        .value_kind:     by_value
      - .address_space:  global
        .offset:         32
        .size:           8
        .value_kind:     global_buffer
      - .offset:         40
        .size:           8
        .value_kind:     by_value
      - .offset:         48
        .size:           8
        .value_kind:     by_value
      - .address_space:  global
        .offset:         56
        .size:           8
        .value_kind:     global_buffer
      - .offset:         64
        .size:           8
        .value_kind:     by_value
      - .offset:         72
        .size:           8
        .value_kind:     by_value
      - .offset:         80
        .size:           8
        .value_kind:     by_value
      - .address_space:  global
        .offset:         88
        .size:           8
        .value_kind:     global_buffer
      - .offset:         96
        .size:           8
        .value_kind:     by_value
    .group_segment_fixed_size: 128
    .kernarg_segment_align: 8
    .kernarg_segment_size: 104
    .language:       OpenCL C
    .language_version:
      - 2
      - 0
    .max_flat_workgroup_size: 1024
    .name:           _ZN9rocsolver6v33100L18larfg_kernel_smallILi1024EdldPdEEvT1_T3_llPT2_llS4_lS3_lPT0_l
    .private_segment_fixed_size: 0
    .sgpr_count:     43
    .sgpr_spill_count: 0
    .symbol:         _ZN9rocsolver6v33100L18larfg_kernel_smallILi1024EdldPdEEvT1_T3_llPT2_llS4_lS3_lPT0_l.kd
    .uniform_work_group_size: 1
    .uses_dynamic_stack: false
    .vgpr_count:     25
    .vgpr_spill_count: 0
    .wavefront_size: 64
  - .agpr_count:     0
    .args:
      - .offset:         0
        .size:           8
        .value_kind:     by_value
      - .address_space:  global
        .offset:         8
        .size:           8
        .value_kind:     global_buffer
      - .offset:         16
        .size:           8
        .value_kind:     by_value
      - .offset:         24
        .size:           8
        .value_kind:     by_value
      - .address_space:  global
        .offset:         32
        .size:           8
        .value_kind:     global_buffer
      - .offset:         40
        .size:           8
        .value_kind:     by_value
      - .offset:         48
        .size:           8
        .value_kind:     by_value
      - .address_space:  global
        .offset:         56
        .size:           8
        .value_kind:     global_buffer
      - .offset:         64
        .size:           8
        .value_kind:     by_value
      - .offset:         72
        .size:           8
        .value_kind:     by_value
      - .offset:         80
        .size:           8
        .value_kind:     by_value
      - .address_space:  global
        .offset:         88
        .size:           8
        .value_kind:     global_buffer
      - .offset:         96
        .size:           8
        .value_kind:     by_value
    .group_segment_fixed_size: 8
    .kernarg_segment_align: 8
    .kernarg_segment_size: 104
    .language:       OpenCL C
    .language_version:
      - 2
      - 0
    .max_flat_workgroup_size: 64
    .name:           _ZN9rocsolver6v33100L18larfg_kernel_smallILi64EdldPKPdEEvT1_T3_llPT2_llS6_lS5_lPT0_l
    .private_segment_fixed_size: 0
    .sgpr_count:     34
    .sgpr_spill_count: 0
    .symbol:         _ZN9rocsolver6v33100L18larfg_kernel_smallILi64EdldPKPdEEvT1_T3_llPT2_llS6_lS5_lPT0_l.kd
    .uniform_work_group_size: 1
    .uses_dynamic_stack: false
    .vgpr_count:     17
    .vgpr_spill_count: 0
    .wavefront_size: 64
  - .agpr_count:     0
    .args:
      - .offset:         0
        .size:           8
        .value_kind:     by_value
      - .address_space:  global
        .offset:         8
        .size:           8
        .value_kind:     global_buffer
      - .offset:         16
        .size:           8
        .value_kind:     by_value
      - .offset:         24
        .size:           8
        .value_kind:     by_value
      - .address_space:  global
        .offset:         32
        .size:           8
        .value_kind:     global_buffer
      - .offset:         40
        .size:           8
        .value_kind:     by_value
      - .offset:         48
        .size:           8
        .value_kind:     by_value
      - .address_space:  global
        .offset:         56
        .size:           8
        .value_kind:     global_buffer
      - .offset:         64
        .size:           8
        .value_kind:     by_value
      - .offset:         72
        .size:           8
        .value_kind:     by_value
      - .offset:         80
        .size:           8
        .value_kind:     by_value
      - .address_space:  global
        .offset:         88
        .size:           8
        .value_kind:     global_buffer
      - .offset:         96
        .size:           8
        .value_kind:     by_value
    .group_segment_fixed_size: 16
    .kernarg_segment_align: 8
    .kernarg_segment_size: 104
    .language:       OpenCL C
    .language_version:
      - 2
      - 0
    .max_flat_workgroup_size: 128
    .name:           _ZN9rocsolver6v33100L18larfg_kernel_smallILi128EdldPKPdEEvT1_T3_llPT2_llS6_lS5_lPT0_l
    .private_segment_fixed_size: 0
    .sgpr_count:     34
    .sgpr_spill_count: 0
    .symbol:         _ZN9rocsolver6v33100L18larfg_kernel_smallILi128EdldPKPdEEvT1_T3_llPT2_llS6_lS5_lPT0_l.kd
    .uniform_work_group_size: 1
    .uses_dynamic_stack: false
    .vgpr_count:     17
    .vgpr_spill_count: 0
    .wavefront_size: 64
  - .agpr_count:     0
    .args:
      - .offset:         0
        .size:           8
        .value_kind:     by_value
      - .address_space:  global
        .offset:         8
        .size:           8
        .value_kind:     global_buffer
      - .offset:         16
        .size:           8
        .value_kind:     by_value
      - .offset:         24
        .size:           8
        .value_kind:     by_value
      - .address_space:  global
        .offset:         32
        .size:           8
        .value_kind:     global_buffer
      - .offset:         40
        .size:           8
        .value_kind:     by_value
      - .offset:         48
        .size:           8
        .value_kind:     by_value
      - .address_space:  global
        .offset:         56
        .size:           8
        .value_kind:     global_buffer
      - .offset:         64
        .size:           8
        .value_kind:     by_value
      - .offset:         72
        .size:           8
        .value_kind:     by_value
      - .offset:         80
        .size:           8
        .value_kind:     by_value
      - .address_space:  global
        .offset:         88
        .size:           8
        .value_kind:     global_buffer
      - .offset:         96
        .size:           8
        .value_kind:     by_value
    .group_segment_fixed_size: 32
    .kernarg_segment_align: 8
    .kernarg_segment_size: 104
    .language:       OpenCL C
    .language_version:
      - 2
      - 0
    .max_flat_workgroup_size: 256
    .name:           _ZN9rocsolver6v33100L18larfg_kernel_smallILi256EdldPKPdEEvT1_T3_llPT2_llS6_lS5_lPT0_l
    .private_segment_fixed_size: 0
    .sgpr_count:     34
    .sgpr_spill_count: 0
    .symbol:         _ZN9rocsolver6v33100L18larfg_kernel_smallILi256EdldPKPdEEvT1_T3_llPT2_llS6_lS5_lPT0_l.kd
    .uniform_work_group_size: 1
    .uses_dynamic_stack: false
    .vgpr_count:     17
    .vgpr_spill_count: 0
    .wavefront_size: 64
  - .agpr_count:     0
    .args:
      - .offset:         0
        .size:           8
        .value_kind:     by_value
      - .address_space:  global
        .offset:         8
        .size:           8
        .value_kind:     global_buffer
      - .offset:         16
        .size:           8
        .value_kind:     by_value
      - .offset:         24
        .size:           8
        .value_kind:     by_value
      - .address_space:  global
        .offset:         32
        .size:           8
        .value_kind:     global_buffer
      - .offset:         40
        .size:           8
        .value_kind:     by_value
      - .offset:         48
        .size:           8
        .value_kind:     by_value
      - .address_space:  global
        .offset:         56
        .size:           8
        .value_kind:     global_buffer
      - .offset:         64
        .size:           8
        .value_kind:     by_value
      - .offset:         72
        .size:           8
        .value_kind:     by_value
      - .offset:         80
        .size:           8
        .value_kind:     by_value
      - .address_space:  global
        .offset:         88
        .size:           8
        .value_kind:     global_buffer
      - .offset:         96
        .size:           8
        .value_kind:     by_value
    .group_segment_fixed_size: 64
    .kernarg_segment_align: 8
    .kernarg_segment_size: 104
    .language:       OpenCL C
    .language_version:
      - 2
      - 0
    .max_flat_workgroup_size: 512
    .name:           _ZN9rocsolver6v33100L18larfg_kernel_smallILi512EdldPKPdEEvT1_T3_llPT2_llS6_lS5_lPT0_l
    .private_segment_fixed_size: 0
    .sgpr_count:     34
    .sgpr_spill_count: 0
    .symbol:         _ZN9rocsolver6v33100L18larfg_kernel_smallILi512EdldPKPdEEvT1_T3_llPT2_llS6_lS5_lPT0_l.kd
    .uniform_work_group_size: 1
    .uses_dynamic_stack: false
    .vgpr_count:     17
    .vgpr_spill_count: 0
    .wavefront_size: 64
  - .agpr_count:     0
    .args:
      - .offset:         0
        .size:           8
        .value_kind:     by_value
      - .address_space:  global
        .offset:         8
        .size:           8
        .value_kind:     global_buffer
      - .offset:         16
        .size:           8
        .value_kind:     by_value
      - .offset:         24
        .size:           8
        .value_kind:     by_value
      - .address_space:  global
        .offset:         32
        .size:           8
        .value_kind:     global_buffer
      - .offset:         40
        .size:           8
        .value_kind:     by_value
      - .offset:         48
        .size:           8
        .value_kind:     by_value
      - .address_space:  global
        .offset:         56
        .size:           8
        .value_kind:     global_buffer
      - .offset:         64
        .size:           8
        .value_kind:     by_value
      - .offset:         72
        .size:           8
        .value_kind:     by_value
      - .offset:         80
        .size:           8
        .value_kind:     by_value
      - .address_space:  global
        .offset:         88
        .size:           8
        .value_kind:     global_buffer
      - .offset:         96
        .size:           8
        .value_kind:     by_value
    .group_segment_fixed_size: 128
    .kernarg_segment_align: 8
    .kernarg_segment_size: 104
    .language:       OpenCL C
    .language_version:
      - 2
      - 0
    .max_flat_workgroup_size: 1024
    .name:           _ZN9rocsolver6v33100L18larfg_kernel_smallILi1024EdldPKPdEEvT1_T3_llPT2_llS6_lS5_lPT0_l
    .private_segment_fixed_size: 0
    .sgpr_count:     34
    .sgpr_spill_count: 0
    .symbol:         _ZN9rocsolver6v33100L18larfg_kernel_smallILi1024EdldPKPdEEvT1_T3_llPT2_llS6_lS5_lPT0_l.kd
    .uniform_work_group_size: 1
    .uses_dynamic_stack: false
    .vgpr_count:     25
    .vgpr_spill_count: 0
    .wavefront_size: 64
amdhsa.target:   amdgcn-amd-amdhsa--gfx950
amdhsa.version:
  - 1
  - 2
...

	.end_amdgpu_metadata
